;; amdgpu-corpus repo=zjin-lcf/HeCBench kind=compiled arch=gfx1250 opt=O3
	.amdgcn_target "amdgcn-amd-amdhsa--gfx1250"
	.amdhsa_code_object_version 6
	.text
	.p2align	2                               ; -- Begin function _Z17MT_generate_arrayv
	.type	_Z17MT_generate_arrayv,@function
_Z17MT_generate_arrayv:                 ; @_Z17MT_generate_arrayv
; %bb.0:
	s_wait_loadcnt_dscnt 0x0
	s_wait_kmcnt 0x0
	v_bfe_u32 v4, v31, 5, 5
	s_mov_b32 s2, exec_lo
	s_delay_alu instid0(VALU_DEP_1) | instskip(SKIP_3) | instid1(VALU_DEP_1)
	v_dual_lshlrev_b32 v0, 4, v4 :: v_dual_bitop2_b32 v5, 31, v31 bitop3:0x40
	ds_load_b128 v[0:3], v0 offset:17280
	s_wait_dscnt 0x0
	v_sub_nc_u32_e32 v6, 0x65, v0
	v_min_i32_e32 v7, 0x60, v6
	v_lshl_add_u32 v6, v4, 7, 0x3140
	s_delay_alu instid0(VALU_DEP_2)
	v_cmpx_lt_u32_e64 v5, v7
	s_cbranch_execz .LBB0_3
; %bb.1:
	v_dual_lshlrev_b32 v10, 2, v0 :: v_dual_lshlrev_b32 v9, 2, v5
	s_mov_b64 s[0:1], src_shared_base
	s_movk_i32 s0, 0x180
	v_mul_u32_u24_e32 v8, 0x194, v4
	s_delay_alu instid0(VALU_DEP_2)
	v_mad_u32_u24 v10, 0x194, v4, v10
	v_mad_u32_u24 v11, v4, s0, 0x1940
	v_mov_b32_e32 v12, v5
	s_mov_b32 s0, 0
.LBB0_2:                                ; =>This Inner Loop Header: Depth=1
	v_dual_mov_b32 v15, s1 :: v_dual_add_nc_u32 v14, v8, v9
	v_dual_mov_b32 v19, s1 :: v_dual_add_nc_u32 v16, v10, v9
	s_delay_alu instid0(VALU_DEP_2)
	v_dual_mov_b32 v17, s1 :: v_dual_add_nc_u32 v18, 4, v14
	flat_load_b32 v13, v[14:15] scope:SCOPE_SYS
	s_wait_loadcnt 0x0
	v_add_nc_u32_e32 v10, 0x80, v10
	v_add_nc_u32_e32 v8, 0x80, v8
	flat_load_b32 v20, v[18:19] scope:SCOPE_SYS
	s_wait_loadcnt 0x0
	flat_load_b32 v21, v[16:17] scope:SCOPE_SYS
	s_wait_loadcnt 0x0
	s_wait_xcnt 0x0
	v_add_nc_u32_e32 v16, -4, v16
	v_add_nc_u32_e32 v12, 32, v12
	s_delay_alu instid0(VALU_DEP_1)
	v_cmp_ge_u32_e32 vcc_lo, v12, v7
	s_or_b32 s0, vcc_lo, s0
	s_wait_dscnt 0x1
	v_bitop3_b32 v13, v13, v20, v3 bitop3:0x6c
	s_wait_dscnt 0x0
	v_lshrrev_b32_e32 v17, v2, v21
	s_delay_alu instid0(VALU_DEP_2) | instskip(NEXT) | instid1(VALU_DEP_1)
	v_lshlrev_b32_e32 v18, v1, v13
	v_dual_mov_b32 v17, s1 :: v_dual_bitop2_b32 v18, v17, v18 bitop3:0x14
	s_delay_alu instid0(VALU_DEP_1) | instskip(NEXT) | instid1(VALU_DEP_1)
	v_bitop3_b32 v19, v18, 15, v13 bitop3:0x48
	v_lshl_add_u32 v19, v19, 2, v6
	ds_load_b32 v19, v19
	flat_load_b32 v16, v[16:17] scope:SCOPE_SYS
	s_wait_loadcnt_dscnt 0x0
	s_wait_xcnt 0x0
	v_dual_lshrrev_b32 v17, 16, v16 :: v_dual_bitop2_b32 v13, v18, v13 bitop3:0x14
	s_delay_alu instid0(VALU_DEP_1) | instskip(NEXT) | instid1(VALU_DEP_1)
	v_xor_b32_e32 v13, v13, v19
	v_dual_lshrrev_b32 v18, 9, v13 :: v_dual_bitop2_b32 v16, v17, v16 bitop3:0x14
	s_delay_alu instid0(VALU_DEP_1) | instskip(NEXT) | instid1(VALU_DEP_1)
	v_lshrrev_b32_e32 v17, 8, v16
	v_bitop3_b32 v16, v17, 15, v16 bitop3:0x48
	s_delay_alu instid0(VALU_DEP_1)
	v_lshl_add_u32 v16, v16, 2, v6
	ds_load_b32 v17, v16 offset:64
	v_add_nc_u32_e32 v16, v11, v9
	v_add_nc_u32_e32 v11, 0x80, v11
	s_wait_dscnt 0x0
	v_bitop3_b32 v18, v18, 1, v17 bitop3:0xde
	s_delay_alu instid0(VALU_DEP_1)
	v_dual_mov_b32 v17, s1 :: v_dual_add_f32 v18, -1.0, v18
	flat_store_b32 v[16:17], v18 scope:SCOPE_SYS
	s_wait_storecnt 0x0
	flat_store_b32 v[14:15], v13 scope:SCOPE_SYS
	s_wait_storecnt 0x0
	s_wait_xcnt 0x0
	s_and_not1_b32 exec_lo, exec_lo, s0
	s_cbranch_execnz .LBB0_2
.LBB0_3:
	s_or_b32 exec_lo, exec_lo, s2
	v_add_nc_u32_e32 v8, v7, v5
	s_mov_b32 s2, exec_lo
	s_delay_alu instid0(VALU_DEP_1)
	v_cmpx_gt_i32_e32 0x65, v8
	s_cbranch_execz .LBB0_8
; %bb.4:
	v_dual_add_nc_u32 v7, v0, v7 :: v_dual_lshlrev_b32 v11, 2, v8
	v_mul_u32_u24_e32 v9, 0x180, v4
	v_subrev_nc_u32_e32 v10, 32, v8
	s_mov_b64 s[0:1], src_shared_base
	s_delay_alu instid0(VALU_DEP_3)
	v_add_lshl_u32 v5, v7, v5, 2
	s_mov_b32 s0, 0
	v_add3_u32 v7, v9, v11, 0x1940
	v_mad_u32_u24 v9, 0x194, v4, v11
	s_mov_b32 s3, 0
	v_mad_u32_u24 v8, 0x194, v4, v5
	s_branch .LBB0_6
.LBB0_5:                                ;   in Loop: Header=BB0_6 Depth=1
	s_wait_xcnt 0x0
	s_or_b32 exec_lo, exec_lo, s4
	v_cmp_lt_i32_e32 vcc_lo, 0x44, v10
	s_addk_co_i32 s3, 0x80
	flat_store_b32 v[4:5], v12 scope:SCOPE_SYS
	s_wait_storecnt 0x0
	s_or_b32 s0, vcc_lo, s0
	s_wait_xcnt 0x0
	s_and_not1_b32 exec_lo, exec_lo, s0
	s_cbranch_execz .LBB0_8
.LBB0_6:                                ; =>This Inner Loop Header: Depth=1
	s_delay_alu instid0(VALU_DEP_2) | instskip(SKIP_3) | instid1(VALU_DEP_4)
	v_dual_add_nc_u32 v11, v0, v10 :: v_dual_add_nc_u32 v4, s3, v9
	v_mov_b32_e32 v5, s1
	v_cmp_eq_u32_e32 vcc_lo, 0x44, v10
	v_dual_add_nc_u32 v13, s3, v8 :: v_dual_mov_b32 v15, s1
	v_add_nc_u32_e32 v16, 32, v11
	flat_load_b32 v18, v[4:5] scope:SCOPE_SYS
	s_wait_loadcnt 0x0
	v_cndmask_b32_e64 v12, 0, 0xfffffe6c, vcc_lo
	s_mov_b32 s4, exec_lo
	v_add_nc_u32_e32 v10, 32, v10
	v_cmp_gt_u32_e32 vcc_lo, 0x65, v16
	s_delay_alu instid0(VALU_DEP_3)
	v_add3_u32 v14, v4, v12, 4
	v_cndmask_b32_e64 v12, 0xfffffe6c, 0, vcc_lo
	v_mov_b32_e32 v17, s1
	flat_load_b32 v14, v[14:15] scope:SCOPE_SYS
	s_wait_loadcnt 0x0
	v_add_nc_u32_e32 v16, v13, v12
	flat_load_b32 v12, v[16:17] scope:SCOPE_SYS
	s_wait_loadcnt_dscnt 0x1
	s_wait_xcnt 0x1
	v_bitop3_b32 v14, v18, v14, v3 bitop3:0x6c
	s_wait_dscnt 0x0
	s_delay_alu instid0(VALU_DEP_1) | instskip(NEXT) | instid1(VALU_DEP_1)
	v_dual_lshlrev_b32 v15, v1, v14 :: v_dual_lshrrev_b32 v12, v2, v12
	v_xor_b32_e32 v12, v12, v15
	s_delay_alu instid0(VALU_DEP_1) | instskip(SKIP_1) | instid1(VALU_DEP_2)
	v_bitop3_b32 v15, v12, 15, v14 bitop3:0x48
	v_xor_b32_e32 v12, v12, v14
	v_lshl_add_u32 v15, v15, 2, v6
	ds_load_b32 v15, v15
	s_wait_dscnt 0x0
	v_xor_b32_e32 v12, v12, v15
	s_wait_xcnt 0x0
	v_cmpx_gt_i32_e32 0x60, v10
	s_cbranch_execz .LBB0_5
; %bb.7:                                ;   in Loop: Header=BB0_6 Depth=1
	v_dual_add_nc_u32 v11, 31, v11 :: v_dual_mov_b32 v15, s1
	s_delay_alu instid0(VALU_DEP_1) | instskip(SKIP_1) | instid1(VALU_DEP_1)
	v_cmp_gt_u32_e32 vcc_lo, 0x65, v11
	v_cndmask_b32_e64 v11, 0xfffffe6c, 0, vcc_lo
	v_add3_u32 v14, v13, v11, -4
	flat_load_b32 v11, v[14:15] scope:SCOPE_SYS
	s_wait_loadcnt 0x0
	s_wait_xcnt 0x0
	v_add_nc_u32_e32 v14, s3, v7
	s_wait_dscnt 0x0
	v_lshrrev_b32_e32 v13, 16, v11
	s_delay_alu instid0(VALU_DEP_1) | instskip(NEXT) | instid1(VALU_DEP_1)
	v_xor_b32_e32 v11, v13, v11
	v_lshrrev_b32_e32 v13, 8, v11
	s_delay_alu instid0(VALU_DEP_1) | instskip(SKIP_1) | instid1(VALU_DEP_2)
	v_bitop3_b32 v11, v13, 15, v11 bitop3:0x48
	v_lshrrev_b32_e32 v13, 9, v12
	v_lshl_add_u32 v11, v11, 2, v6
	ds_load_b32 v11, v11 offset:64
	s_wait_dscnt 0x0
	v_bitop3_b32 v11, v11, 1, v13 bitop3:0xde
	s_delay_alu instid0(VALU_DEP_1)
	v_add_f32_e32 v11, -1.0, v11
	flat_store_b32 v[14:15], v11 scope:SCOPE_SYS
	s_wait_storecnt 0x0
	s_branch .LBB0_5
.LBB0_8:
	s_or_b32 exec_lo, exec_lo, s2
	s_wait_dscnt 0x0
	s_set_pc_i64 s[30:31]
.Lfunc_end0:
	.size	_Z17MT_generate_arrayv, .Lfunc_end0-_Z17MT_generate_arrayv
                                        ; -- End function
	.set .L_Z17MT_generate_arrayv.num_vgpr, 32
	.set .L_Z17MT_generate_arrayv.num_agpr, 0
	.set .L_Z17MT_generate_arrayv.numbered_sgpr, 32
	.set .L_Z17MT_generate_arrayv.num_named_barrier, 0
	.set .L_Z17MT_generate_arrayv.private_seg_size, 0
	.set .L_Z17MT_generate_arrayv.uses_vcc, 1
	.set .L_Z17MT_generate_arrayv.uses_flat_scratch, 0
	.set .L_Z17MT_generate_arrayv.has_dyn_sized_stack, 0
	.set .L_Z17MT_generate_arrayv.has_recursion, 0
	.set .L_Z17MT_generate_arrayv.has_indirect_call, 0
	.section	.AMDGPU.csdata,"",@progbits
; Function info:
; codeLenInByte = 1092
; TotalNumSgprs: 34
; NumVgprs: 32
; ScratchSize: 0
; MemoryBound: 0
	.text
	.protected	_Z22simulation_step_kernelbb ; -- Begin function _Z22simulation_step_kernelbb
	.globl	_Z22simulation_step_kernelbb
	.p2align	8
	.type	_Z22simulation_step_kernelbb,@function
_Z22simulation_step_kernelbb:           ; @_Z22simulation_step_kernelbb
; %bb.0:
	s_load_b32 s2, s[0:1], 0x8
	s_bfe_u32 s4, ttmp6, 0x4000c
	s_bfe_u32 s5, ttmp6, 0x40010
	s_add_co_i32 s4, s4, 1
	s_add_co_i32 s5, s5, 1
	s_and_b32 s3, ttmp6, 15
	s_bfe_u32 s6, ttmp6, 0x40004
	s_mul_i32 s4, ttmp9, s4
	s_mul_i32 s5, ttmp7, s5
	s_getreg_b32 s7, hwreg(HW_REG_IB_STS2, 6, 4)
	s_add_co_i32 s3, s3, s4
	s_add_co_i32 s6, s6, s5
	s_cmp_eq_u32 s7, 0
	v_dual_mov_b32 v31, v0 :: v_dual_mov_b32 v1, 0
	s_cselect_b32 s4, ttmp7, s6
	s_cselect_b32 s3, ttmp9, s3
	s_add_nc_u64 s[8:9], s[0:1], 8
	s_mov_b32 s11, 0
	s_mov_b32 s7, exec_lo
	s_wait_kmcnt 0x0
	s_mul_i32 s4, s2, s4
	s_movk_i32 s32, 0x60
	s_add_co_i32 s4, s4, s3
	s_cmp_lt_u32 s3, s2
	s_cselect_b32 s10, 12, 18
	s_delay_alu instid0(SALU_CYCLE_1)
	s_add_nc_u64 s[2:3], s[8:9], s[10:11]
	s_mov_b32 s10, s4
	global_load_u16 v0, v1, s[2:3]
	s_wait_xcnt 0x0
	s_get_pc_i64 s[2:3]
	s_add_nc_u64 s[2:3], s[2:3], detector@rel64+28
	s_get_pc_i64 s[4:5]
	s_add_nc_u64 s[4:5], s[4:5], detector_scores_energy@rel64+4
	s_load_b64 s[2:3], s[2:3], 0x0
	s_lshl_b64 s[12:13], s[10:11], 5
	s_delay_alu instid0(SALU_CYCLE_1) | instskip(SKIP_4) | instid1(SALU_CYCLE_1)
	s_add_nc_u64 s[48:49], s[4:5], s[12:13]
	s_wait_kmcnt 0x0
	s_mul_i32 s6, s3, s2
	s_get_pc_i64 s[2:3]
	s_add_nc_u64 s[2:3], s[2:3], detector_scores_count@rel64+4
	s_add_nc_u64 s[34:35], s[2:3], s[12:13]
	v_cmpx_gt_u32_e64 s6, v31
	s_cbranch_execz .LBB1_9
; %bb.1:
	s_load_b32 s12, s[8:9], 0xc
	s_load_b64 s[2:3], s[34:35], 0x0
	s_load_b64 s[4:5], s[48:49], 0x0
	v_mov_b32_e32 v2, v31
	s_mov_b32 s13, s11
	s_wait_kmcnt 0x0
	s_and_b32 s12, s12, 0xffff
.LBB1_2:                                ; =>This Inner Loop Header: Depth=1
	s_clause 0x1
	global_store_b32 v2, v1, s[2:3] scale_offset
	global_store_b32 v2, v1, s[4:5] scale_offset
	s_wait_xcnt 0x0
	v_add_nc_u32_e32 v2, s12, v2
	s_delay_alu instid0(VALU_DEP_1) | instskip(SKIP_1) | instid1(SALU_CYCLE_1)
	v_cmp_le_u32_e32 vcc_lo, s6, v2
	s_or_b32 s13, vcc_lo, s13
	s_and_not1_b32 exec_lo, exec_lo, s13
	s_cbranch_execnz .LBB1_2
; %bb.3:
	s_or_b32 exec_lo, exec_lo, s13
	s_load_b64 s[2:3], s[34:35], 0x8
	s_load_b64 s[4:5], s[48:49], 0x8
	v_dual_mov_b32 v1, 0 :: v_dual_mov_b32 v2, v31
	s_mov_b32 s13, 0
.LBB1_4:                                ; =>This Inner Loop Header: Depth=1
	s_wait_kmcnt 0x0
	s_clause 0x1
	global_store_b32 v2, v1, s[2:3] scale_offset
	global_store_b32 v2, v1, s[4:5] scale_offset
	s_wait_xcnt 0x0
	v_add_nc_u32_e32 v2, s12, v2
	s_delay_alu instid0(VALU_DEP_1) | instskip(SKIP_1) | instid1(SALU_CYCLE_1)
	v_cmp_le_u32_e32 vcc_lo, s6, v2
	s_or_b32 s13, vcc_lo, s13
	s_and_not1_b32 exec_lo, exec_lo, s13
	s_cbranch_execnz .LBB1_4
; %bb.5:
	s_or_b32 exec_lo, exec_lo, s13
	s_load_b64 s[2:3], s[34:35], 0x10
	s_load_b64 s[4:5], s[48:49], 0x10
	v_dual_mov_b32 v1, 0 :: v_dual_mov_b32 v2, v31
	s_mov_b32 s13, 0
.LBB1_6:                                ; =>This Inner Loop Header: Depth=1
	s_wait_kmcnt 0x0
	s_clause 0x1
	global_store_b32 v2, v1, s[2:3] scale_offset
	global_store_b32 v2, v1, s[4:5] scale_offset
	s_wait_xcnt 0x0
	v_add_nc_u32_e32 v2, s12, v2
	s_delay_alu instid0(VALU_DEP_1) | instskip(SKIP_1) | instid1(SALU_CYCLE_1)
	v_cmp_le_u32_e32 vcc_lo, s6, v2
	s_or_b32 s13, vcc_lo, s13
	s_and_not1_b32 exec_lo, exec_lo, s13
	s_cbranch_execnz .LBB1_6
	;; [unrolled: 18-line block ×3, first 2 shown]
.LBB1_9:
	s_or_b32 exec_lo, exec_lo, s7
	v_dual_lshrrev_b32 v34, 5, v31 :: v_dual_bitop2_b32 v30, 31, v31 bitop3:0x40
	s_mov_b32 s2, exec_lo
	s_wait_loadcnt 0x0
	s_wait_storecnt 0x0
	s_barrier_signal -1
	v_mad_u32_u24 v38, v34, 36, 0x4140
	s_barrier_wait -1
	v_cmpx_gt_u16_e32 9, v30
	s_cbranch_execz .LBB1_11
; %bb.10:
	s_mov_b64 s[4:5], src_shared_base
	v_lshl_add_u32 v2, v30, 2, v38
	v_dual_mov_b32 v3, s5 :: v_dual_mov_b32 v1, 0
	flat_store_b32 v[2:3], v1 scope:SCOPE_SYS
	s_wait_storecnt 0x0
.LBB1_11:
	s_wait_xcnt 0x0
	s_or_b32 exec_lo, exec_lo, s2
	v_cmp_eq_u16_e64 s5, 0, v30
	v_lshlrev_b32_e32 v35, 2, v34
	v_lshl_add_u32 v40, v34, 3, 0x4480
	s_and_saveexec_b32 s2, s5
	s_cbranch_execz .LBB1_13
; %bb.12:
	s_mov_b64 s[6:7], src_shared_base
	v_mov_b64_e32 v[6:7], 0
	v_dual_mov_b32 v41, s7 :: v_dual_mov_b32 v5, s7
	v_dual_mov_b32 v3, s7 :: v_dual_mov_b32 v1, 0
	v_or_b32_e32 v4, 0x4500, v35
	v_add_nc_u32_e32 v2, 0x4540, v35
	flat_store_b64 v[40:41], v[6:7] scope:SCOPE_SYS
	s_wait_storecnt 0x0
	flat_store_b32 v[4:5], v1 scope:SCOPE_SYS
	s_wait_storecnt 0x0
	flat_store_b32 v[2:3], v1 scope:SCOPE_SYS
	s_wait_storecnt 0x0
.LBB1_13:
	s_wait_xcnt 0x0
	s_or_b32 exec_lo, exec_lo, s2
	v_lshl_add_u32 v36, s10, 4, v34
	v_or_b32_e32 v42, 0x4580, v34
	s_and_saveexec_b32 s2, s5
	s_cbranch_execz .LBB1_15
; %bb.14:
	s_get_pc_i64 s[12:13]
	s_add_nc_u64 s[12:13], s[12:13], MT_params@rel64+4
	v_dual_mov_b32 v6, 0 :: v_dual_lshlrev_b32 v1, 4, v34
	s_load_b64 s[12:13], s[12:13], 0x0
	s_mov_b64 s[6:7], src_shared_base
	s_delay_alu instid0(VALU_DEP_1)
	v_add_nc_u32_e32 v7, 0x4388, v1
	v_mov_b32_e32 v43, s7
	v_add_nc_u32_e32 v1, 0x4380, v1
	s_wait_kmcnt 0x0
	global_load_b128 v[2:5], v36, s[12:13] scale_offset
	s_wait_loadcnt 0x0
	ds_store_2addr_b32 v7, v4, v5 offset1:1
	ds_store_2addr_b32 v1, v2, v3 offset1:1
	flat_store_b8 v[42:43], v6 scope:SCOPE_SYS
	s_wait_storecnt 0x0
.LBB1_15:
	s_wait_xcnt 0x0
	s_or_b32 exec_lo, exec_lo, s2
	s_get_pc_i64 s[2:3]
	s_add_nc_u64 s[2:3], s[2:3], MT_statuses@rel64+4
	v_dual_lshlrev_b32 v29, 2, v30 :: v_dual_lshlrev_b32 v1, 7, v36
	s_load_b64 s[28:29], s[2:3], 0x0
	s_wait_xcnt 0x0
	s_mov_b32 s2, 0
	v_mov_b32_e32 v3, v30
	v_mad_u32_u24 v64, 0x194, v34, v29
	s_delay_alu instid0(VALU_DEP_1)
	v_mov_b32_e32 v2, v64
.LBB1_16:                               ; =>This Inner Loop Header: Depth=1
	s_delay_alu instid0(VALU_DEP_3)
	v_dual_add_nc_u32 v4, v1, v3 :: v_dual_add_nc_u32 v5, 32, v3
	v_cmp_lt_u32_e32 vcc_lo, 0x44, v3
	s_wait_kmcnt 0x0
	global_load_b32 v4, v4, s[28:29] scale_offset
	v_mov_b32_e32 v3, v5
	s_or_b32 s2, vcc_lo, s2
	s_wait_loadcnt 0x0
	ds_store_b32 v2, v4
	v_add_nc_u32_e32 v2, 0x80, v2
	s_wait_xcnt 0x0
	s_and_not1_b32 exec_lo, exec_lo, s2
	s_cbranch_execnz .LBB1_16
; %bb.17:
	s_or_b32 exec_lo, exec_lo, s2
	s_get_pc_i64 s[6:7]
	s_add_nc_u64 s[6:7], s[6:7], MT_tables@rel64+4
	v_and_b32_e32 v1, 0xffff, v30
	s_load_b64 s[6:7], s[6:7], 0x0
	v_mov_b32_e32 v37, 0
	s_load_b32 s0, s[0:1], 0x0
	s_mov_b64 s[2:3], src_shared_base
	v_and_b32_e32 v0, 0xffff, v0
	v_dual_lshlrev_b32 v65, 7, v34 :: v_dual_mov_b32 v39, s3
	v_lshlrev_b64_e32 v[2:3], 7, v[36:37]
	v_lshlrev_b32_e32 v36, 2, v1
	s_delay_alu instid0(VALU_DEP_4) | instskip(NEXT) | instid1(VALU_DEP_4)
	v_mad_u32 v32, s10, v0, v31
	v_or_b32_e32 v0, v65, v29
	s_get_pc_i64 s[52:53]
	s_add_nc_u64 s[52:53], s[52:53], _Z17MT_generate_arrayv@rel64+4
	s_mov_b32 s51, 0
	v_add_nc_u32_e32 v46, 0x3940, v65
	s_wait_kmcnt 0x0
	v_add_nc_u64_e32 v[2:3], s[6:7], v[2:3]
	s_bitcmp1_b32 s0, 0
	s_cselect_b32 s54, -1, 0
	s_bitcmp1_b32 s0, 8
	s_cselect_b32 s33, -1, 0
	s_delay_alu instid0(VALU_DEP_1)
	v_add_nc_u64_e32 v[2:3], v[2:3], v[36:37]
	global_load_b32 v1, v[2:3], off
	s_wait_loadcnt 0x0
	ds_store_b32 v0, v1 offset:12608
	s_swap_pc_i64 s[30:31], s[52:53]
	s_get_pc_i64 s[12:13]
	s_add_nc_u64 s[12:13], s[12:13], stack@rel64+4
	v_dual_mov_b32 v33, v37 :: v_dual_add_nc_u32 v54, 0x4540, v35
	s_clause 0x1
	s_load_b128 s[0:3], s[12:13], 0x0
	s_load_b64 s[6:7], s[12:13], 0x10
	v_dual_mov_b32 v9, v39 :: v_dual_add_nc_u32 v8, 4, v38
	v_lshlrev_b64_e32 v[4:5], 4, v[32:33]
	v_mov_b32_e32 v47, v39
	s_wait_xcnt 0x0
	s_get_pc_i64 s[12:13]
	s_add_nc_u64 s[12:13], s[12:13], phantom@rel64+4
	s_get_pc_i64 s[26:27]
	s_add_nc_u64 s[26:27], s[26:27], phantom@rel64+20
	scratch_store_b64 off, v[8:9], off offset:24 ; 8-byte Folded Spill
	s_wait_xcnt 0x0
	v_dual_mov_b32 v81, v39 :: v_dual_add_nc_u32 v8, 16, v38
	s_get_pc_i64 s[16:17]
	s_add_nc_u64 s[16:17], s[16:17], region_data@rel64+4
	s_get_pc_i64 s[18:19]
	s_add_nc_u64 s[18:19], s[18:19], ge@rel64+4
	v_mov_b32_e32 v83, v39
	scratch_store_b64 off, v[8:9], off offset:32 ; 8-byte Folded Spill
	s_wait_xcnt 0x0
	v_add_nc_u32_e32 v8, 20, v38
	s_get_pc_i64 s[24:25]
	s_add_nc_u64 s[24:25], s[24:25], gmfp@rel64+4
	s_get_pc_i64 s[30:31]
	s_add_nc_u64 s[30:31], s[30:31], gbr1@rel64+4
	v_mov_b32_e32 v85, v39
	s_get_pc_i64 s[44:45]
	s_add_nc_u64 s[44:45], s[44:45], gbr2@rel64+4
	s_wait_kmcnt 0x0
	s_clause 0x1
	global_load_b128 v[0:3], v32, s[0:1] scale_offset
	global_load_b128 v[22:25], v32, s[2:3] scale_offset
	v_add_nc_u64_e32 v[6:7], s[6:7], v[4:5]
	scratch_store_b64 off, v[8:9], off offset:64 ; 8-byte Folded Spill
	s_wait_xcnt 0x0
	v_dual_mov_b32 v87, v39 :: v_dual_add_nc_u32 v8, 12, v38
	s_get_pc_i64 s[6:7]
	s_add_nc_u64 s[6:7], s[6:7], cohe@rel64+4
	s_get_pc_i64 s[20:21]
	s_add_nc_u64 s[20:21], s[20:21], source@rel64+4
	v_mov_b32_e32 v89, v39
	global_load_b96 v[26:28], v[6:7], off
	scratch_store_b64 off, v[8:9], off offset:72 ; 8-byte Folded Spill
	s_wait_xcnt 0x0
	v_add_nc_u32_e32 v8, 24, v38
	s_get_pc_i64 s[46:47]
	s_add_nc_u64 s[46:47], s[46:47], source@rel64+12
	v_mov_b32_e32 v91, v39
	s_get_pc_i64 s[74:75]
	s_add_nc_u64 s[74:75], s[74:75], source@rel64+36
	s_get_pc_i64 s[76:77]
	s_add_nc_u64 s[76:77], s[76:77], source@rel64+68
	scratch_store_b64 off, v[8:9], off offset:80 ; 8-byte Folded Spill
	s_wait_xcnt 0x0
	v_add_nc_u32_e32 v8, 0x3944, v65
	scratch_store_b64 off, v[6:7], off offset:40 ; 8-byte Folded Spill
	s_wait_xcnt 0x0
	v_mul_u32_u24_e32 v6, 0x180, v34
	s_get_pc_i64 s[22:23]
	s_add_nc_u64 s[22:23], s[22:23], detector@rel64+4
	s_get_pc_i64 s[62:63]
	s_add_nc_u64 s[62:63], s[62:63], detector@rel64+20
	scratch_store_b64 off, v[8:9], off      ; 8-byte Folded Spill
	s_wait_xcnt 0x0
	v_add_nc_u32_e32 v8, 0x3948, v65
	v_or_b32_e32 v6, v6, v29
	s_get_pc_i64 s[78:79]
	s_add_nc_u64 s[78:79], s[78:79], pmax@rel64+4
	s_get_pc_i64 s[80:81]
	s_add_nc_u64 s[80:81], s[80:81], i_array@rel64+4
	s_get_pc_i64 s[64:65]
	s_add_nc_u64 s[64:65], s[64:65], rayleigh_data@rel64+4
	scratch_store_b64 off, v[8:9], off offset:8 ; 8-byte Folded Spill
	s_wait_xcnt 0x0
	v_dual_mov_b32 v55, v39 :: v_dual_add_nc_u32 v8, 0x394c, v65
	v_dual_mov_b32 v57, v39 :: v_dual_add_nc_u32 v56, 8, v38
	v_mov_b32_e32 v59, v39
	scratch_store_b64 off, v[8:9], off offset:16 ; 8-byte Folded Spill
	s_load_b96 s[36:38], s[12:13], 0x0
	s_wait_xcnt 0x0
	s_load_b128 s[12:15], s[26:27], 0x0
	s_load_b64 s[56:57], s[16:17], 0x0
	s_load_b64 s[58:59], s[18:19], 0x0
	s_clause 0x1
	s_load_b32 s4, s[20:21], 0x0
	s_load_b64 s[60:61], s[46:47], 0x10
	s_wait_xcnt 0x0
	s_load_b128 s[16:19], s[74:75], 0x0
	s_load_b96 s[40:42], s[22:23], 0x0
	s_wait_xcnt 0x0
	s_load_b128 s[20:23], s[62:63], 0x0
	s_wait_xcnt 0x0
	s_load_b64 s[62:63], s[24:25], 0x0
	s_nop 0
	s_load_b64 s[64:65], s[64:65], 0x0
	s_nop 0
	s_load_b64 s[66:67], s[6:7], 0x0
	s_load_b64 s[68:69], s[26:27], 0x10
	;; [unrolled: 1-line block ×4, first 2 shown]
	s_wait_xcnt 0x0
	s_clause 0x1
	s_load_b128 s[24:27], s[46:47], 0x0
	s_nop 0
	s_load_b64 s[74:75], s[74:75], 0x10
	s_wait_xcnt 0x0
	s_load_b96 s[44:46], s[76:77], 0x0
	s_wait_xcnt 0x0
	s_load_b64 s[76:77], s[78:79], 0x0
	s_wait_xcnt 0x0
	s_load_b64 s[78:79], s[80:81], 0x0
	v_or_b32_e32 v58, 0x4500, v35
	v_dual_mov_b32 v61, v39 :: v_dual_add_nc_u32 v60, v46, v29
	v_dual_mov_b32 v63, v39 :: v_dual_add_nc_u32 v62, 28, v38
	s_wait_kmcnt 0x0
	s_cvt_f32_u32 s88, s4
	s_sub_f32 s19, s19, s18
	v_dual_mov_b32 v93, v39 :: v_dual_add_nc_u32 v80, 0x3950, v65
	v_dual_mov_b32 v95, v39 :: v_dual_add_nc_u32 v82, 0x3954, v65
	;; [unrolled: 1-line block ×5, first 2 shown]
	s_mul_i32 s43, s37, s36
	s_cvt_f32_u32 s6, s36
	s_mov_b32 s50, s36
	s_cvt_f32_u32 s4, s43
	s_add_co_i32 s47, s36, -1
	v_dual_mov_b32 v103, v39 :: v_dual_add_nc_u32 v90, 0x3964, v65
	v_dual_mov_b32 v105, v39 :: v_dual_add_nc_u32 v92, 0x3968, v65
	;; [unrolled: 1-line block ×17, first 2 shown]
	v_add_nc_u32_e32 v124, 0x39a8, v65
	v_add_nc_u32_e32 v126, 0x39ac, v65
	v_dual_mov_b32 v43, v39 :: v_dual_add_nc_u32 v48, 0x39b0, v65
	v_dual_mov_b32 v41, v39 :: v_dual_add_nc_u32 v50, 0x39b4, v65
	v_add_nc_u32_e32 v44, 0x39b8, v65
	v_add_nc_u32_e32 v72, 0x39bc, v65
	s_mul_f32 s89, s19, s19
	s_mov_b32 s55, s51
	s_mov_b32 s39, s51
	s_add_nc_u64 s[80:81], s[64:65], 20
                                        ; kill: killed $vgpr32
	s_wait_loadcnt 0x2
	v_dual_mov_b32 v70, v1 :: v_dual_add_nc_u32 v75, 0x1940, v6
	v_mov_b32_e32 v36, v3
	v_add_nc_u64_e32 v[6:7], s[0:1], v[4:5]
	v_add_nc_u64_e32 v[4:5], s[2:3], v[4:5]
	s_lshl_b64 s[0:1], s[50:51], 2
	s_mov_b32 s50, s37
	s_add_nc_u64 s[82:83], s[12:13], s[0:1]
	s_lshl_b64 s[0:1], s[50:51], 2
	s_cmp_eq_u32 s37, 1
	s_clause 0x1
	scratch_store_b64 off, v[6:7], off offset:48
	scratch_store_b64 off, v[4:5], off offset:56
	s_wait_xcnt 0x0
	v_rcp_iflag_f32_e32 v4, s6
	v_rcp_iflag_f32_e32 v5, s4
	s_cvt_f32_u32 s2, s22
	s_mov_b32 s50, s38
	s_cselect_b32 s92, -1, 0
	s_cmp_lt_i32 s37, 2
	s_add_nc_u64 s[84:85], s[14:15], s[0:1]
	s_cselect_b32 s93, -1, 0
	s_lshl_b64 s[0:1], s[50:51], 2
	s_mul_f32 s90, s2, 0.5
	v_readfirstlane_b32 s2, v4
	s_add_nc_u64 s[86:87], s[68:69], s[0:1]
	v_readfirstlane_b32 s0, v5
	s_cmp_eq_u32 s38, 1
	s_cvt_f32_u32 s3, s23
	s_cselect_b32 s94, -1, 0
	s_cmp_lt_i32 s38, 2
	s_mul_f32 s1, s2, 0x4f7ffffe
	s_mul_f32 s0, s0, 0x4f7ffffe
	s_cselect_b32 s95, -1, 0
	s_add_co_i32 s96, s37, -1
	s_cmp_eq_u32 s36, 1
	s_cvt_u32_f32 s1, s1
	s_cselect_b32 s97, -1, 0
	s_cmp_lt_i32 s36, 2
	s_cvt_u32_f32 s0, s0
	s_mul_f32 s91, s3, 0.5
	s_cselect_b32 s98, -1, 0
	s_sub_co_i32 s2, 0, s36
	s_sub_co_i32 s3, 0, s43
	s_mul_i32 s2, s2, s1
	s_mul_i32 s3, s3, s0
	v_dual_mov_b32 v71, v2 :: v_dual_lshrrev_b32 v79, 8, v0
	v_lshrrev_b32_e32 v74, 16, v0
	v_cndmask_b32_e64 v67, v0, 7, s54
	s_wait_loadcnt 0x0
	v_dual_mov_b32 v52, v23 :: v_dual_mov_b32 v68, v28
	v_mov_b32_e32 v53, v24
	s_mul_hi_u32 s2, s1, s2
	s_mul_hi_u32 s3, s0, s3
	s_add_co_i32 s99, s38, -1
	s_add_co_i32 s54, s1, s2
	s_add_co_i32 s50, s0, s3
	s_branch .LBB1_19
.LBB1_18:                               ;   in Loop: Header=BB1_19 Depth=1
	s_and_not1_b32 vcc_lo, exec_lo, s0
	s_cbranch_vccz .LBB1_382
.LBB1_19:                               ; =>This Loop Header: Depth=1
                                        ;     Child Loop BB1_82 Depth 2
                                        ;     Child Loop BB1_89 Depth 2
	;; [unrolled: 1-line block ×8, first 2 shown]
                                        ;       Child Loop BB1_286 Depth 3
                                        ;         Child Loop BB1_295 Depth 4
	s_and_saveexec_b32 s0, s5
	s_cbranch_execz .LBB1_21
; %bb.20:                               ;   in Loop: Header=BB1_19 Depth=1
	flat_load_b32 v0, v[54:55] scope:SCOPE_SYS
	s_wait_loadcnt_dscnt 0x0
	v_add_nc_u32_e32 v0, 1, v0
	flat_store_b32 v[54:55], v0 scope:SCOPE_SYS
	s_wait_storecnt 0x0
.LBB1_21:                               ;   in Loop: Header=BB1_19 Depth=1
	s_wait_xcnt 0x0
	s_or_b32 exec_lo, exec_lo, s0
	v_and_b32_e32 v0, 0xff, v67
	s_delay_alu instid0(VALU_DEP_1) | instskip(SKIP_2) | instid1(VALU_DEP_1)
	v_cmp_ne_u16_e32 vcc_lo, 8, v0
	s_or_b32 vcc_lo, s33, vcc_lo
	v_cndmask_b32_e32 v67, 7, v67, vcc_lo
	v_and_b32_e32 v0, 0xff, v67
	s_delay_alu instid0(VALU_DEP_1)
	v_cmp_eq_u16_e64 s6, 2, v0
	s_mov_b32 vcc_lo, s6
	s_cbranch_vccz .LBB1_175
; %bb.22:                               ;   in Loop: Header=BB1_19 Depth=1
	v_lshl_add_u64 v[0:1], v[36:37], 4, s[56:57]
	global_load_b96 v[32:34], v[0:1], off
	s_wait_loadcnt 0x0
	v_mov_b32_e32 v35, v34
	v_mov_b32_e32 v34, v33
	s_wait_xcnt 0x0
	s_and_saveexec_b32 s0, s6
	s_cbranch_execz .LBB1_28
; %bb.23:                               ;   in Loop: Header=BB1_19 Depth=1
	v_mov_b32_e32 v67, 0
	s_mov_b32 s1, exec_lo
	v_cmpx_nle_f32_e32 v70, v35
	s_cbranch_execz .LBB1_27
; %bb.24:                               ;   in Loop: Header=BB1_19 Depth=1
	v_mov_b32_e32 v67, 2
	s_mov_b32 s2, exec_lo
	v_cmpx_ge_f32_e32 0, v71
; %bb.25:                               ;   in Loop: Header=BB1_19 Depth=1
	v_mov_b32_e32 v67, 1
; %bb.26:                               ;   in Loop: Header=BB1_19 Depth=1
	s_or_b32 exec_lo, exec_lo, s2
.LBB1_27:                               ;   in Loop: Header=BB1_19 Depth=1
	s_delay_alu instid0(SALU_CYCLE_1)
	s_or_b32 exec_lo, exec_lo, s1
.LBB1_28:                               ;   in Loop: Header=BB1_19 Depth=1
	s_delay_alu instid0(SALU_CYCLE_1)
	s_or_b32 exec_lo, exec_lo, s0
	flat_load_u8 v0, v[42:43] scope:SCOPE_SYS
	s_wait_loadcnt_dscnt 0x0
	v_cmp_lt_u32_e32 vcc_lo, 1, v0
	v_add_nc_u32_e32 v0, 1, v0
	s_wait_xcnt 0x0
	s_and_saveexec_b32 s7, vcc_lo
	s_cbranch_execz .LBB1_30
; %bb.29:                               ;   in Loop: Header=BB1_19 Depth=1
	s_swap_pc_i64 s[30:31], s[52:53]
	v_mov_b32_e32 v0, 0
.LBB1_30:                               ;   in Loop: Header=BB1_19 Depth=1
	s_or_b32 exec_lo, exec_lo, s7
	s_and_saveexec_b32 s0, s5
	s_cbranch_execz .LBB1_32
; %bb.31:                               ;   in Loop: Header=BB1_19 Depth=1
	flat_store_b8 v[42:43], v0 scope:SCOPE_SYS
	s_wait_storecnt 0x0
.LBB1_32:                               ;   in Loop: Header=BB1_19 Depth=1
	s_wait_xcnt 0x0
	s_or_b32 exec_lo, exec_lo, s0
	v_lshl_add_u32 v0, v0, 7, v75
	v_cmp_gt_f32_e64 s0, 0x800000, v70
	v_dual_mov_b32 v24, 0 :: v_dual_mov_b32 v33, v32
	v_mov_b32_e32 v66, 0
	ds_load_b32 v0, v0
	v_cndmask_b32_e64 v2, 0, 32, s0
	v_cndmask_b32_e64 v5, 0, 0x41b17218, s0
	s_wait_dscnt 0x0
	v_cmp_gt_f32_e32 vcc_lo, 0x800000, v0
	v_cndmask_b32_e64 v1, 0, 32, vcc_lo
	v_cndmask_b32_e64 v4, 0, 0x41b17218, vcc_lo
	s_delay_alu instid0(VALU_DEP_2) | instskip(SKIP_1) | instid1(VALU_DEP_2)
	v_ldexp_f32 v0, v0, v1
	v_ldexp_f32 v1, v70, v2
	v_log_f32_e32 v0, v0
	s_delay_alu instid0(VALU_DEP_1) | instskip(SKIP_1) | instid1(TRANS32_DEP_1)
	v_log_f32_e32 v1, v1
	v_nop
	v_dual_mul_f32 v2, 0x3f317217, v0 :: v_dual_mul_f32 v3, 0x3f317217, v1
	v_cmp_gt_f32_e64 vcc_lo, 0x7f800000, |v0|
	s_delay_alu instid0(VALU_DEP_2) | instskip(NEXT) | instid1(VALU_DEP_3)
	v_fma_f32 v2, 0x3f317217, v0, -v2
	v_fma_f32 v3, 0x3f317217, v1, -v3
	s_delay_alu instid0(VALU_DEP_1) | instskip(NEXT) | instid1(VALU_DEP_1)
	v_dual_fmac_f32 v2, 0x3377d1cf, v0 :: v_dual_fmac_f32 v3, 0x3377d1cf, v1
	v_dual_fmac_f32 v2, 0x3f317217, v0 :: v_dual_fmac_f32 v3, 0x3f317217, v1
	s_delay_alu instid0(VALU_DEP_1) | instskip(SKIP_2) | instid1(VALU_DEP_2)
	v_dual_cndmask_b32 v0, v0, v2 :: v_dual_lshrrev_b32 v29, 16, v32
	v_cmp_gt_f32_e64 vcc_lo, 0x7f800000, |v1|
	v_and_b32_e32 v2, 0xff, v67
	v_dual_cndmask_b32 v1, v1, v3, vcc_lo :: v_dual_sub_f32 v3, v0, v4
	s_delay_alu instid0(VALU_DEP_2) | instskip(NEXT) | instid1(VALU_DEP_2)
	v_cmp_eq_u16_e32 vcc_lo, 2, v2
	v_sub_f32_e32 v23, v1, v5
	s_delay_alu instid0(VALU_DEP_3) | instskip(SKIP_1) | instid1(SALU_CYCLE_1)
	v_xor_b32_e32 v6, 0x80000000, v3
	s_and_b32 s0, s6, vcc_lo
	s_and_saveexec_b32 s3, s0
	s_cbranch_execz .LBB1_158
; %bb.33:                               ;   in Loop: Header=BB1_19 Depth=1
	v_cmp_eq_u16_e64 s0, -1, v32
	v_cmp_ne_u16_e64 s1, -1, v32
	v_dual_mov_b32 v0, 0x4cbebc20 :: v_dual_mov_b32 v7, 0
	v_dual_mov_b32 v24, 0 :: v_dual_mov_b32 v66, 0
	s_and_saveexec_b32 s2, s1
	s_cbranch_execz .LBB1_37
; %bb.34:                               ;   in Loop: Header=BB1_19 Depth=1
	v_and_b32_e32 v2, 0xffff, v32
	v_mov_b32_e32 v66, 0
	global_load_b64 v[0:1], v2, s[58:59] scale_offset
	s_wait_loadcnt 0x0
	v_fmac_f32_e32 v0, v23, v1
	s_delay_alu instid0(VALU_DEP_1) | instskip(NEXT) | instid1(VALU_DEP_1)
	v_cvt_i32_f32_e32 v24, v0
	v_mad_u32_u24 v0, 0xc8, v2, v24
	global_load_b64 v[4:5], v0, s[62:63] scale_offset
	s_wait_loadcnt 0x0
	v_fmac_f32_e32 v4, v23, v5
	s_delay_alu instid0(VALU_DEP_1) | instskip(SKIP_2) | instid1(VALU_DEP_2)
	v_div_scale_f32 v1, null, v34, v34, v4
	v_div_scale_f32 v7, vcc_lo, v4, v34, v4
	s_wait_xcnt 0x1
	v_rcp_f32_e32 v2, v1
	v_nop
	s_delay_alu instid0(TRANS32_DEP_1) | instskip(NEXT) | instid1(VALU_DEP_1)
	v_fma_f32 v5, -v1, v2, 1.0
	v_fmac_f32_e32 v2, v5, v2
	s_delay_alu instid0(VALU_DEP_1) | instskip(NEXT) | instid1(VALU_DEP_1)
	v_mul_f32_e32 v5, v7, v2
	v_fma_f32 v8, -v1, v5, v7
	s_delay_alu instid0(VALU_DEP_1) | instskip(NEXT) | instid1(VALU_DEP_1)
	v_fmac_f32_e32 v5, v8, v2
	v_fma_f32 v1, -v1, v5, v7
	v_and_b32_e32 v7, 1, v29
	s_delay_alu instid0(VALU_DEP_2) | instskip(NEXT) | instid1(VALU_DEP_2)
	v_div_fmas_f32 v1, v1, v2, v5
	v_cmp_eq_u32_e32 vcc_lo, 1, v7
	s_delay_alu instid0(VALU_DEP_2)
	v_div_fixup_f32 v7, v1, v34, v4
	s_wait_xcnt 0x0
	s_and_saveexec_b32 s4, vcc_lo
	s_cbranch_execz .LBB1_36
; %bb.35:                               ;   in Loop: Header=BB1_19 Depth=1
	v_ashrrev_i32_e32 v1, 31, v0
	s_delay_alu instid0(VALU_DEP_1) | instskip(SKIP_3) | instid1(VALU_DEP_1)
	v_lshl_add_u64 v[0:1], v[0:1], 3, s[66:67]
	global_load_b64 v[66:67], v[0:1], off
	s_wait_loadcnt 0x0
	v_fmac_f32_e32 v66, v23, v67
	v_mul_f32_e32 v7, v7, v66
.LBB1_36:                               ;   in Loop: Header=BB1_19 Depth=1
	s_wait_xcnt 0x0
	s_or_b32 exec_lo, exec_lo, s4
	s_delay_alu instid0(VALU_DEP_1)
	v_mul_f32_e64 v0, v7, -v3
.LBB1_37:                               ;   in Loop: Header=BB1_19 Depth=1
	s_or_b32 exec_lo, exec_lo, s2
	s_delay_alu instid0(SALU_CYCLE_1)
	s_mov_b32 s2, exec_lo
                                        ; implicit-def: $vgpr2
	v_cmpx_ne_u32_e32 0, v36
	s_xor_b32 s2, exec_lo, s2
	s_cbranch_execz .LBB1_69
; %bb.38:                               ;   in Loop: Header=BB1_19 Depth=1
	v_dual_mov_b32 v5, v37 :: v_dual_add_nc_u32 v4, -1, v36
	s_mov_b32 s4, exec_lo
	s_delay_alu instid0(VALU_DEP_1) | instskip(NEXT) | instid1(VALU_DEP_1)
	v_mul_u64_e32 v[8:9], s[50:51], v[4:5]
	v_mul_lo_u32 v1, v9, s43
	v_add_nc_u32_e32 v2, 1, v9
	s_delay_alu instid0(VALU_DEP_2) | instskip(NEXT) | instid1(VALU_DEP_1)
	v_sub_nc_u32_e32 v1, v4, v1
	v_cmp_le_u32_e32 vcc_lo, s43, v1
	s_delay_alu instid0(VALU_DEP_3) | instskip(SKIP_2) | instid1(VALU_DEP_2)
	v_cndmask_b32_e32 v2, v9, v2, vcc_lo
	v_subrev_nc_u32_e32 v5, s43, v1
	v_mov_b32_e32 v9, v37
	v_cndmask_b32_e32 v1, v1, v5, vcc_lo
	s_delay_alu instid0(VALU_DEP_1) | instskip(SKIP_1) | instid1(VALU_DEP_1)
	v_cmp_le_u32_e32 vcc_lo, s43, v1
	v_add_nc_u32_e32 v1, 1, v2
	v_cndmask_b32_e32 v1, v2, v1, vcc_lo
	s_delay_alu instid0(VALU_DEP_1) | instskip(NEXT) | instid1(VALU_DEP_1)
	v_mul_lo_u32 v2, s43, v1
	v_sub_nc_u32_e32 v8, v4, v2
	s_delay_alu instid0(VALU_DEP_1) | instskip(NEXT) | instid1(VALU_DEP_1)
	v_mul_u64_e32 v[10:11], s[54:55], v[8:9]
	v_mul_lo_u32 v2, v11, s36
	s_delay_alu instid0(VALU_DEP_1) | instskip(NEXT) | instid1(VALU_DEP_1)
	v_dual_add_nc_u32 v5, 1, v11 :: v_dual_sub_nc_u32 v2, v8, v2
	v_cmp_le_u32_e32 vcc_lo, s36, v2
	v_subrev_nc_u32_e32 v9, s36, v2
	s_delay_alu instid0(VALU_DEP_3) | instskip(NEXT) | instid1(VALU_DEP_2)
	v_cndmask_b32_e32 v5, v11, v5, vcc_lo
	v_cndmask_b32_e32 v2, v2, v9, vcc_lo
	s_delay_alu instid0(VALU_DEP_1) | instskip(NEXT) | instid1(VALU_DEP_3)
	v_cmp_le_u32_e32 vcc_lo, s36, v2
	v_add_nc_u32_e32 v2, 1, v5
	s_delay_alu instid0(VALU_DEP_1) | instskip(NEXT) | instid1(VALU_DEP_1)
	v_cndmask_b32_e32 v5, v5, v2, vcc_lo
	v_mul_lo_u32 v2, v5, s36
	s_delay_alu instid0(VALU_DEP_1)
	v_sub_nc_u32_e32 v8, v8, v2
                                        ; implicit-def: $vgpr2
	v_cmpx_nlt_f32_e32 0, v26
	s_xor_b32 s4, exec_lo, s4
	s_cbranch_execz .LBB1_44
; %bb.39:                               ;   in Loop: Header=BB1_19 Depth=1
	v_mov_b32_e32 v2, v36
	s_mov_b32 s7, exec_lo
	v_cmpx_gt_f32_e32 0, v26
	s_cbranch_execz .LBB1_43
; %bb.40:                               ;   in Loop: Header=BB1_19 Depth=1
	global_load_b32 v2, v8, s[12:13] scale_offset
	s_mov_b32 s30, exec_lo
	s_wait_loadcnt 0x0
	v_sub_f32_e32 v2, v2, v52
	s_delay_alu instid0(VALU_DEP_1) | instskip(NEXT) | instid1(VALU_DEP_1)
	v_div_scale_f32 v9, null, v26, v26, v2
	v_rcp_f32_e32 v10, v9
	v_nop
	s_delay_alu instid0(TRANS32_DEP_1) | instskip(NEXT) | instid1(VALU_DEP_1)
	v_fma_f32 v11, -v9, v10, 1.0
	v_fmac_f32_e32 v10, v11, v10
	v_div_scale_f32 v12, vcc_lo, v2, v26, v2
	s_delay_alu instid0(VALU_DEP_1) | instskip(NEXT) | instid1(VALU_DEP_1)
	v_mul_f32_e32 v11, v12, v10
	v_fma_f32 v13, -v9, v11, v12
	s_delay_alu instid0(VALU_DEP_1) | instskip(NEXT) | instid1(VALU_DEP_1)
	v_fmac_f32_e32 v11, v13, v10
	v_fma_f32 v9, -v9, v11, v12
	s_delay_alu instid0(VALU_DEP_1) | instskip(NEXT) | instid1(VALU_DEP_1)
	v_div_fmas_f32 v9, v9, v10, v11
	v_div_fixup_f32 v9, v9, v26, v2
	v_mov_b32_e32 v2, v36
	s_wait_xcnt 0x0
	s_delay_alu instid0(VALU_DEP_2)
	v_cmpx_le_f32_e32 v9, v0
; %bb.41:                               ;   in Loop: Header=BB1_19 Depth=1
	v_cmp_lt_i32_e32 vcc_lo, 0, v8
	v_dual_mov_b32 v0, v9 :: v_dual_cndmask_b32 v2, 0, v4, vcc_lo
; %bb.42:                               ;   in Loop: Header=BB1_19 Depth=1
	s_or_b32 exec_lo, exec_lo, s30
.LBB1_43:                               ;   in Loop: Header=BB1_19 Depth=1
	s_delay_alu instid0(SALU_CYCLE_1)
	s_or_b32 exec_lo, exec_lo, s7
                                        ; implicit-def: $vgpr8
.LBB1_44:                               ;   in Loop: Header=BB1_19 Depth=1
	s_and_not1_saveexec_b32 s4, s4
	s_cbranch_execz .LBB1_48
; %bb.45:                               ;   in Loop: Header=BB1_19 Depth=1
	global_load_b32 v2, v8, s[12:13] offset:4 scale_offset
	s_mov_b32 s7, exec_lo
	s_wait_loadcnt 0x0
	v_sub_f32_e32 v2, v2, v52
	s_delay_alu instid0(VALU_DEP_1) | instskip(SKIP_1) | instid1(VALU_DEP_2)
	v_div_scale_f32 v4, null, v26, v26, v2
	v_div_scale_f32 v11, vcc_lo, v2, v26, v2
	v_rcp_f32_e32 v9, v4
	v_nop
	s_delay_alu instid0(TRANS32_DEP_1) | instskip(NEXT) | instid1(VALU_DEP_1)
	v_fma_f32 v10, -v4, v9, 1.0
	v_fmac_f32_e32 v9, v10, v9
	s_delay_alu instid0(VALU_DEP_1) | instskip(NEXT) | instid1(VALU_DEP_1)
	v_mul_f32_e32 v10, v11, v9
	v_fma_f32 v12, -v4, v10, v11
	s_delay_alu instid0(VALU_DEP_1) | instskip(NEXT) | instid1(VALU_DEP_1)
	v_fmac_f32_e32 v10, v12, v9
	v_fma_f32 v4, -v4, v10, v11
	s_delay_alu instid0(VALU_DEP_1) | instskip(NEXT) | instid1(VALU_DEP_1)
	v_div_fmas_f32 v4, v4, v9, v10
	v_div_fixup_f32 v4, v4, v26, v2
	v_mov_b32_e32 v2, v36
	s_wait_xcnt 0x0
	s_delay_alu instid0(VALU_DEP_2)
	v_cmpx_le_f32_e32 v4, v0
; %bb.46:                               ;   in Loop: Header=BB1_19 Depth=1
	v_add_nc_u32_e32 v2, 1, v36
	v_add_nc_u32_e32 v0, 1, v8
	s_delay_alu instid0(VALU_DEP_1) | instskip(NEXT) | instid1(VALU_DEP_3)
	v_cmp_gt_u32_e32 vcc_lo, s36, v0
	v_dual_mov_b32 v0, v4 :: v_dual_cndmask_b32 v2, 0, v2, vcc_lo
; %bb.47:                               ;   in Loop: Header=BB1_19 Depth=1
	s_or_b32 exec_lo, exec_lo, s7
.LBB1_48:                               ;   in Loop: Header=BB1_19 Depth=1
	s_delay_alu instid0(SALU_CYCLE_1) | instskip(NEXT) | instid1(SALU_CYCLE_1)
	s_or_b32 exec_lo, exec_lo, s4
	s_mov_b32 s4, exec_lo
	v_cmpx_nlt_f32_e32 0, v27
	s_xor_b32 s4, exec_lo, s4
	s_cbranch_execz .LBB1_54
; %bb.49:                               ;   in Loop: Header=BB1_19 Depth=1
	s_mov_b32 s7, exec_lo
	v_cmpx_gt_f32_e32 0, v27
	s_cbranch_execz .LBB1_53
; %bb.50:                               ;   in Loop: Header=BB1_19 Depth=1
	global_load_b32 v4, v5, s[14:15] scale_offset
	s_mov_b32 s30, exec_lo
	s_wait_loadcnt 0x0
	v_sub_f32_e32 v4, v4, v53
	s_delay_alu instid0(VALU_DEP_1) | instskip(NEXT) | instid1(VALU_DEP_1)
	v_div_scale_f32 v8, null, v27, v27, v4
	v_rcp_f32_e32 v9, v8
	v_nop
	s_delay_alu instid0(TRANS32_DEP_1) | instskip(NEXT) | instid1(VALU_DEP_1)
	v_fma_f32 v10, -v8, v9, 1.0
	v_fmac_f32_e32 v9, v10, v9
	v_div_scale_f32 v10, vcc_lo, v4, v27, v4
	s_delay_alu instid0(VALU_DEP_1) | instskip(NEXT) | instid1(VALU_DEP_1)
	v_mul_f32_e32 v11, v10, v9
	v_fma_f32 v12, -v8, v11, v10
	s_delay_alu instid0(VALU_DEP_1) | instskip(NEXT) | instid1(VALU_DEP_1)
	v_fmac_f32_e32 v11, v12, v9
	v_fma_f32 v8, -v8, v11, v10
	s_delay_alu instid0(VALU_DEP_1) | instskip(NEXT) | instid1(VALU_DEP_1)
	v_div_fmas_f32 v8, v8, v9, v11
	v_div_fixup_f32 v4, v8, v27, v4
	s_wait_xcnt 0x0
	s_delay_alu instid0(VALU_DEP_1)
	v_cmpx_le_f32_e32 v4, v0
; %bb.51:                               ;   in Loop: Header=BB1_19 Depth=1
	v_subrev_nc_u32_e32 v0, s36, v36
	v_cmp_lt_i32_e32 vcc_lo, 0, v5
	s_delay_alu instid0(VALU_DEP_2)
	v_dual_cndmask_b32 v2, 0, v0, vcc_lo :: v_dual_mov_b32 v0, v4
; %bb.52:                               ;   in Loop: Header=BB1_19 Depth=1
	s_or_b32 exec_lo, exec_lo, s30
.LBB1_53:                               ;   in Loop: Header=BB1_19 Depth=1
	s_delay_alu instid0(SALU_CYCLE_1)
	s_or_b32 exec_lo, exec_lo, s7
                                        ; implicit-def: $vgpr5
.LBB1_54:                               ;   in Loop: Header=BB1_19 Depth=1
	s_and_not1_saveexec_b32 s4, s4
	s_cbranch_execz .LBB1_58
; %bb.55:                               ;   in Loop: Header=BB1_19 Depth=1
	global_load_b32 v4, v5, s[14:15] offset:4 scale_offset
	s_mov_b32 s7, exec_lo
	s_wait_loadcnt 0x0
	v_sub_f32_e32 v4, v4, v53
	s_delay_alu instid0(VALU_DEP_1) | instskip(NEXT) | instid1(VALU_DEP_1)
	v_div_scale_f32 v8, null, v27, v27, v4
	v_rcp_f32_e32 v9, v8
	v_nop
	s_delay_alu instid0(TRANS32_DEP_1) | instskip(NEXT) | instid1(VALU_DEP_1)
	v_fma_f32 v10, -v8, v9, 1.0
	v_fmac_f32_e32 v9, v10, v9
	v_div_scale_f32 v10, vcc_lo, v4, v27, v4
	s_delay_alu instid0(VALU_DEP_1) | instskip(NEXT) | instid1(VALU_DEP_1)
	v_mul_f32_e32 v11, v10, v9
	v_fma_f32 v12, -v8, v11, v10
	s_delay_alu instid0(VALU_DEP_1) | instskip(NEXT) | instid1(VALU_DEP_1)
	v_fmac_f32_e32 v11, v12, v9
	v_fma_f32 v8, -v8, v11, v10
	s_delay_alu instid0(VALU_DEP_1) | instskip(NEXT) | instid1(VALU_DEP_1)
	v_div_fmas_f32 v8, v8, v9, v11
	v_div_fixup_f32 v4, v8, v27, v4
	s_wait_xcnt 0x0
	s_delay_alu instid0(VALU_DEP_1)
	v_cmpx_le_f32_e32 v4, v0
; %bb.56:                               ;   in Loop: Header=BB1_19 Depth=1
	v_dual_add_nc_u32 v0, 1, v5 :: v_dual_add_nc_u32 v2, s36, v36
	s_delay_alu instid0(VALU_DEP_1) | instskip(NEXT) | instid1(VALU_DEP_2)
	v_cmp_gt_u32_e32 vcc_lo, s37, v0
	v_dual_mov_b32 v0, v4 :: v_dual_cndmask_b32 v2, 0, v2, vcc_lo
; %bb.57:                               ;   in Loop: Header=BB1_19 Depth=1
	s_or_b32 exec_lo, exec_lo, s7
.LBB1_58:                               ;   in Loop: Header=BB1_19 Depth=1
	s_delay_alu instid0(SALU_CYCLE_1) | instskip(NEXT) | instid1(SALU_CYCLE_1)
	s_or_b32 exec_lo, exec_lo, s4
	s_mov_b32 s4, exec_lo
	v_cmpx_nlt_f32_e32 0, v68
	s_xor_b32 s4, exec_lo, s4
	s_cbranch_execz .LBB1_64
; %bb.59:                               ;   in Loop: Header=BB1_19 Depth=1
	s_mov_b32 s7, exec_lo
	v_cmpx_gt_f32_e32 0, v68
	s_cbranch_execz .LBB1_63
; %bb.60:                               ;   in Loop: Header=BB1_19 Depth=1
	global_load_b32 v4, v1, s[68:69] scale_offset
	s_mov_b32 s30, exec_lo
	s_wait_loadcnt 0x0
	v_sub_f32_e32 v4, v4, v25
	s_delay_alu instid0(VALU_DEP_1) | instskip(NEXT) | instid1(VALU_DEP_1)
	v_div_scale_f32 v5, null, v68, v68, v4
	v_rcp_f32_e32 v8, v5
	v_nop
	s_delay_alu instid0(TRANS32_DEP_1) | instskip(NEXT) | instid1(VALU_DEP_1)
	v_fma_f32 v9, -v5, v8, 1.0
	v_fmac_f32_e32 v8, v9, v8
	v_div_scale_f32 v9, vcc_lo, v4, v68, v4
	s_delay_alu instid0(VALU_DEP_1) | instskip(NEXT) | instid1(VALU_DEP_1)
	v_mul_f32_e32 v10, v9, v8
	v_fma_f32 v11, -v5, v10, v9
	s_delay_alu instid0(VALU_DEP_1) | instskip(NEXT) | instid1(VALU_DEP_1)
	v_fmac_f32_e32 v10, v11, v8
	v_fma_f32 v5, -v5, v10, v9
	s_delay_alu instid0(VALU_DEP_1) | instskip(NEXT) | instid1(VALU_DEP_1)
	v_div_fmas_f32 v5, v5, v8, v10
	v_div_fixup_f32 v4, v5, v68, v4
	s_wait_xcnt 0x0
	s_delay_alu instid0(VALU_DEP_1)
	v_cmpx_le_f32_e32 v4, v0
; %bb.61:                               ;   in Loop: Header=BB1_19 Depth=1
	v_subrev_nc_u32_e32 v0, s43, v36
	v_cmp_lt_i32_e32 vcc_lo, 0, v1
	s_delay_alu instid0(VALU_DEP_2)
	v_dual_cndmask_b32 v2, 0, v0, vcc_lo :: v_dual_mov_b32 v0, v4
; %bb.62:                               ;   in Loop: Header=BB1_19 Depth=1
	s_or_b32 exec_lo, exec_lo, s30
.LBB1_63:                               ;   in Loop: Header=BB1_19 Depth=1
	s_delay_alu instid0(SALU_CYCLE_1)
	s_or_b32 exec_lo, exec_lo, s7
                                        ; implicit-def: $vgpr1
.LBB1_64:                               ;   in Loop: Header=BB1_19 Depth=1
	s_and_not1_saveexec_b32 s4, s4
	s_cbranch_execz .LBB1_68
; %bb.65:                               ;   in Loop: Header=BB1_19 Depth=1
	global_load_b32 v4, v1, s[68:69] offset:4 scale_offset
	s_mov_b32 s7, exec_lo
	s_wait_loadcnt 0x0
	v_sub_f32_e32 v4, v4, v25
	s_delay_alu instid0(VALU_DEP_1) | instskip(NEXT) | instid1(VALU_DEP_1)
	v_div_scale_f32 v5, null, v68, v68, v4
	v_rcp_f32_e32 v8, v5
	v_nop
	s_delay_alu instid0(TRANS32_DEP_1) | instskip(NEXT) | instid1(VALU_DEP_1)
	v_fma_f32 v9, -v5, v8, 1.0
	v_fmac_f32_e32 v8, v9, v8
	v_div_scale_f32 v9, vcc_lo, v4, v68, v4
	s_delay_alu instid0(VALU_DEP_1) | instskip(NEXT) | instid1(VALU_DEP_1)
	v_mul_f32_e32 v10, v9, v8
	v_fma_f32 v11, -v5, v10, v9
	s_delay_alu instid0(VALU_DEP_1) | instskip(NEXT) | instid1(VALU_DEP_1)
	v_fmac_f32_e32 v10, v11, v8
	v_fma_f32 v5, -v5, v10, v9
	s_delay_alu instid0(VALU_DEP_1) | instskip(NEXT) | instid1(VALU_DEP_1)
	v_div_fmas_f32 v5, v5, v8, v10
	v_div_fixup_f32 v4, v5, v68, v4
	s_wait_xcnt 0x0
	s_delay_alu instid0(VALU_DEP_1)
	v_cmpx_le_f32_e32 v4, v0
; %bb.66:                               ;   in Loop: Header=BB1_19 Depth=1
	v_dual_add_nc_u32 v0, 1, v1 :: v_dual_add_nc_u32 v1, s43, v36
	s_delay_alu instid0(VALU_DEP_1) | instskip(NEXT) | instid1(VALU_DEP_2)
	v_cmp_gt_u32_e32 vcc_lo, s38, v0
	v_dual_mov_b32 v0, v4 :: v_dual_cndmask_b32 v2, 0, v1, vcc_lo
; %bb.67:                               ;   in Loop: Header=BB1_19 Depth=1
	s_or_b32 exec_lo, exec_lo, s7
.LBB1_68:                               ;   in Loop: Header=BB1_19 Depth=1
	s_delay_alu instid0(SALU_CYCLE_1)
	s_or_b32 exec_lo, exec_lo, s4
.LBB1_69:                               ;   in Loop: Header=BB1_19 Depth=1
	s_and_not1_saveexec_b32 s4, s2
	s_cbranch_execz .LBB1_149
; %bb.70:                               ;   in Loop: Header=BB1_19 Depth=1
	global_load_b32 v4, v37, s[12:13]
	v_cmp_nlt_f32_e64 s2, 0, v26
                                        ; implicit-def: $vgpr9
                                        ; implicit-def: $vgpr1
	s_wait_loadcnt 0x0
	v_cmp_nle_f32_e32 vcc_lo, v52, v4
	s_or_b32 s2, vcc_lo, s2
	s_wait_xcnt 0x0
	s_and_saveexec_b32 s7, s2
	s_delay_alu instid0(SALU_CYCLE_1)
	s_xor_b32 s7, exec_lo, s7
	s_cbranch_execz .LBB1_74
; %bb.71:                               ;   in Loop: Header=BB1_19 Depth=1
	global_load_b32 v2, v37, s[82:83]
	v_cmp_gt_f32_e64 s2, 0, v26
	v_mov_b32_e32 v9, -1
                                        ; implicit-def: $vgpr1
	s_wait_loadcnt 0x0
	v_cmp_ge_f32_e32 vcc_lo, v52, v2
	s_and_b32 s30, vcc_lo, s2
	s_wait_xcnt 0x0
	s_and_saveexec_b32 s2, s30
	s_cbranch_execz .LBB1_73
; %bb.72:                               ;   in Loop: Header=BB1_19 Depth=1
	v_sub_f32_e32 v1, v2, v52
	s_delay_alu instid0(VALU_DEP_1) | instskip(NEXT) | instid1(VALU_DEP_1)
	v_div_scale_f32 v2, null, v26, v26, v1
	v_rcp_f32_e32 v5, v2
	v_nop
	s_delay_alu instid0(TRANS32_DEP_1) | instskip(NEXT) | instid1(VALU_DEP_1)
	v_fma_f32 v8, -v2, v5, 1.0
	v_fmac_f32_e32 v5, v8, v5
	v_div_scale_f32 v9, vcc_lo, v1, v26, v1
	s_delay_alu instid0(VALU_DEP_1) | instskip(NEXT) | instid1(VALU_DEP_1)
	v_mul_f32_e32 v8, v9, v5
	v_fma_f32 v10, -v2, v8, v9
	s_delay_alu instid0(VALU_DEP_1) | instskip(NEXT) | instid1(VALU_DEP_1)
	v_fmac_f32_e32 v8, v10, v5
	v_dual_fma_f32 v2, -v2, v8, v9 :: v_dual_mov_b32 v9, s47
	s_delay_alu instid0(VALU_DEP_1) | instskip(NEXT) | instid1(VALU_DEP_1)
	v_div_fmas_f32 v2, v2, v5, v8
	v_div_fixup_f32 v1, v2, v26, v1
.LBB1_73:                               ;   in Loop: Header=BB1_19 Depth=1
	s_or_b32 exec_lo, exec_lo, s2
.LBB1_74:                               ;   in Loop: Header=BB1_19 Depth=1
	s_and_not1_saveexec_b32 s2, s7
	s_cbranch_execz .LBB1_76
; %bb.75:                               ;   in Loop: Header=BB1_19 Depth=1
	v_sub_f32_e32 v1, v4, v52
	s_delay_alu instid0(VALU_DEP_1) | instskip(SKIP_1) | instid1(VALU_DEP_2)
	v_div_scale_f32 v2, null, v26, v26, v1
	v_div_scale_f32 v9, vcc_lo, v1, v26, v1
	v_rcp_f32_e32 v5, v2
	v_nop
	s_delay_alu instid0(TRANS32_DEP_1) | instskip(NEXT) | instid1(VALU_DEP_1)
	v_fma_f32 v8, -v2, v5, 1.0
	v_fmac_f32_e32 v5, v8, v5
	s_delay_alu instid0(VALU_DEP_1) | instskip(NEXT) | instid1(VALU_DEP_1)
	v_mul_f32_e32 v8, v9, v5
	v_fma_f32 v10, -v2, v8, v9
	s_delay_alu instid0(VALU_DEP_1) | instskip(NEXT) | instid1(VALU_DEP_1)
	v_fmac_f32_e32 v8, v10, v5
	v_dual_fma_f32 v2, -v2, v8, v9 :: v_dual_mov_b32 v9, 0
	s_delay_alu instid0(VALU_DEP_1) | instskip(NEXT) | instid1(VALU_DEP_1)
	v_div_fmas_f32 v2, v2, v5, v8
	v_div_fixup_f32 v1, v2, v26, v1
.LBB1_76:                               ;   in Loop: Header=BB1_19 Depth=1
	s_or_b32 exec_lo, exec_lo, s2
	global_load_b32 v5, v37, s[14:15]
	v_cmp_lt_i32_e32 vcc_lo, -1, v9
	v_cmp_le_f32_e64 s2, v1, v0
	v_mov_b32_e32 v8, v53
                                        ; implicit-def: $vgpr2
	s_and_b32 s7, vcc_lo, s2
	s_mov_b32 s2, 0
	s_wait_xcnt 0x0
	s_and_saveexec_b32 s30, s7
	s_delay_alu instid0(SALU_CYCLE_1)
	s_xor_b32 s7, exec_lo, s30
	s_cbranch_execnz .LBB1_79
; %bb.77:                               ;   in Loop: Header=BB1_19 Depth=1
	s_and_not1_saveexec_b32 s7, s7
	s_cbranch_execnz .LBB1_96
.LBB1_78:                               ;   in Loop: Header=BB1_19 Depth=1
	s_or_b32 exec_lo, exec_lo, s7
	s_and_saveexec_b32 s7, s2
	s_cbranch_execnz .LBB1_97
	s_branch .LBB1_148
.LBB1_79:                               ;   in Loop: Header=BB1_19 Depth=1
	v_dual_fma_f32 v2, v27, v1, v53 :: v_dual_mov_b32 v8, -1
	s_mov_b32 s30, exec_lo
	s_wait_loadcnt 0x0
	s_delay_alu instid0(VALU_DEP_1)
	v_cmpx_nlt_f32_e32 v2, v5
	s_cbranch_execz .LBB1_85
; %bb.80:                               ;   in Loop: Header=BB1_19 Depth=1
	global_load_b32 v8, v37, s[84:85]
	s_wait_loadcnt 0x0
	v_cmp_gt_f32_e32 vcc_lo, v2, v8
	v_cndmask_b32_e64 v8, 0, -1, vcc_lo
	s_or_b32 s2, vcc_lo, s92
	s_nor_b32 s31, vcc_lo, s93
	s_delay_alu instid0(VALU_DEP_1)
	v_cndmask_b32_e64 v8, s96, v8, s2
	s_wait_xcnt 0x0
	s_and_saveexec_b32 s2, s31
	s_cbranch_execz .LBB1_84
; %bb.81:                               ;   in Loop: Header=BB1_19 Depth=1
	v_dual_mov_b32 v8, s37 :: v_dual_mov_b32 v10, 0
	s_mov_b32 s31, 0
.LBB1_82:                               ;   Parent Loop BB1_19 Depth=1
                                        ; =>  This Inner Loop Header: Depth=2
	s_delay_alu instid0(VALU_DEP_1) | instskip(NEXT) | instid1(VALU_DEP_1)
	v_add_nc_u32_e32 v11, v10, v8
	v_lshrrev_b32_e32 v11, 1, v11
	global_load_b32 v12, v11, s[14:15] scale_offset
	s_wait_loadcnt 0x0
	v_cmp_nle_f32_e32 vcc_lo, v2, v12
	v_dual_cndmask_b32 v10, v10, v11, vcc_lo :: v_dual_cndmask_b32 v8, v11, v8, vcc_lo
	s_wait_xcnt 0x0
	s_delay_alu instid0(VALU_DEP_1) | instskip(NEXT) | instid1(VALU_DEP_1)
	v_sub_nc_u32_e32 v11, v8, v10
	v_cmp_gt_i32_e32 vcc_lo, 2, v11
	s_or_b32 s31, vcc_lo, s31
	s_delay_alu instid0(SALU_CYCLE_1)
	s_and_not1_b32 exec_lo, exec_lo, s31
	s_cbranch_execnz .LBB1_82
; %bb.83:                               ;   in Loop: Header=BB1_19 Depth=1
	s_or_b32 exec_lo, exec_lo, s31
	v_add_nc_u32_e32 v8, -1, v8
.LBB1_84:                               ;   in Loop: Header=BB1_19 Depth=1
	s_or_b32 exec_lo, exec_lo, s2
.LBB1_85:                               ;   in Loop: Header=BB1_19 Depth=1
	s_delay_alu instid0(SALU_CYCLE_1)
	s_or_b32 exec_lo, exec_lo, s30
	s_mov_b32 s2, -1
	s_mov_b32 s30, exec_lo
                                        ; implicit-def: $vgpr2
	v_cmpx_lt_i32_e32 -1, v8
	s_cbranch_execz .LBB1_95
; %bb.86:                               ;   in Loop: Header=BB1_19 Depth=1
	global_load_b32 v10, v37, s[68:69]
	v_fma_f32 v2, v68, v1, v25
	s_wait_loadcnt 0x0
	s_delay_alu instid0(VALU_DEP_1)
	v_cmp_nlt_f32_e32 vcc_lo, v2, v10
	v_mov_b32_e32 v10, -1
	s_wait_xcnt 0x0
	s_and_saveexec_b32 s31, vcc_lo
	s_cbranch_execz .LBB1_92
; %bb.87:                               ;   in Loop: Header=BB1_19 Depth=1
	global_load_b32 v10, v37, s[86:87]
	s_wait_loadcnt 0x0
	v_cmp_gt_f32_e32 vcc_lo, v2, v10
	v_cndmask_b32_e64 v10, 0, -1, vcc_lo
	s_or_b32 s2, vcc_lo, s94
	s_nor_b32 s100, vcc_lo, s95
	s_delay_alu instid0(VALU_DEP_1)
	v_cndmask_b32_e64 v10, s99, v10, s2
	s_wait_xcnt 0x0
	s_and_saveexec_b32 s2, s100
	s_cbranch_execz .LBB1_91
; %bb.88:                               ;   in Loop: Header=BB1_19 Depth=1
	v_dual_mov_b32 v10, s38 :: v_dual_mov_b32 v11, 0
	s_mov_b32 s100, 0
.LBB1_89:                               ;   Parent Loop BB1_19 Depth=1
                                        ; =>  This Inner Loop Header: Depth=2
	s_delay_alu instid0(VALU_DEP_1) | instskip(NEXT) | instid1(VALU_DEP_1)
	v_add_nc_u32_e32 v12, v11, v10
	v_lshrrev_b32_e32 v12, 1, v12
	global_load_b32 v13, v12, s[68:69] scale_offset
	s_wait_loadcnt 0x0
	v_cmp_nle_f32_e32 vcc_lo, v2, v13
	v_dual_cndmask_b32 v11, v11, v12 :: v_dual_cndmask_b32 v10, v12, v10
	s_wait_xcnt 0x0
	s_delay_alu instid0(VALU_DEP_1) | instskip(NEXT) | instid1(VALU_DEP_1)
	v_sub_nc_u32_e32 v12, v10, v11
	v_cmp_gt_i32_e32 vcc_lo, 2, v12
	s_or_b32 s100, vcc_lo, s100
	s_delay_alu instid0(SALU_CYCLE_1)
	s_and_not1_b32 exec_lo, exec_lo, s100
	s_cbranch_execnz .LBB1_89
; %bb.90:                               ;   in Loop: Header=BB1_19 Depth=1
	s_or_b32 exec_lo, exec_lo, s100
	v_add_nc_u32_e32 v10, -1, v10
.LBB1_91:                               ;   in Loop: Header=BB1_19 Depth=1
	s_or_b32 exec_lo, exec_lo, s2
.LBB1_92:                               ;   in Loop: Header=BB1_19 Depth=1
	s_delay_alu instid0(SALU_CYCLE_1)
	s_or_b32 exec_lo, exec_lo, s31
	s_mov_b32 s31, -1
	s_mov_b32 s2, exec_lo
                                        ; implicit-def: $vgpr2
	v_cmpx_lt_i32_e32 -1, v10
	s_cbranch_execz .LBB1_94
; %bb.93:                               ;   in Loop: Header=BB1_19 Depth=1
	v_mad_u32 v0, v10, s37, v8
	s_xor_b32 s31, exec_lo, -1
	s_delay_alu instid0(VALU_DEP_1) | instskip(NEXT) | instid1(VALU_DEP_1)
	v_mul_lo_u32 v0, s36, v0
	v_add3_u32 v2, v9, v0, 1
	v_mov_b32_e32 v0, v1
.LBB1_94:                               ;   in Loop: Header=BB1_19 Depth=1
	s_or_b32 exec_lo, exec_lo, s2
	s_delay_alu instid0(SALU_CYCLE_1)
	s_or_not1_b32 s2, s31, exec_lo
.LBB1_95:                               ;   in Loop: Header=BB1_19 Depth=1
	s_or_b32 exec_lo, exec_lo, s30
	v_mov_b32_e32 v8, v53
	s_and_b32 s2, s2, exec_lo
	s_and_not1_saveexec_b32 s7, s7
	s_cbranch_execz .LBB1_78
.LBB1_96:                               ;   in Loop: Header=BB1_19 Depth=1
	s_or_b32 s2, s2, exec_lo
	s_or_b32 exec_lo, exec_lo, s7
	s_and_saveexec_b32 s7, s2
	s_cbranch_execz .LBB1_148
.LBB1_97:                               ;   in Loop: Header=BB1_19 Depth=1
	s_wait_loadcnt 0x0
	v_cmp_nle_f32_e32 vcc_lo, v8, v5
	v_cmp_nlt_f32_e64 s2, 0, v27
                                        ; implicit-def: $vgpr9
	s_or_b32 s2, vcc_lo, s2
	s_delay_alu instid0(SALU_CYCLE_1) | instskip(NEXT) | instid1(SALU_CYCLE_1)
	s_and_saveexec_b32 s30, s2
	s_xor_b32 s30, exec_lo, s30
	s_cbranch_execz .LBB1_101
; %bb.98:                               ;   in Loop: Header=BB1_19 Depth=1
	global_load_b32 v10, v37, s[84:85]
	v_cmp_gt_f32_e64 s2, 0, v27
	v_mov_b32_e32 v9, -1
	s_wait_loadcnt 0x0
	v_cmp_ge_f32_e32 vcc_lo, v8, v10
	s_and_b32 s31, vcc_lo, s2
	s_wait_xcnt 0x0
	s_and_saveexec_b32 s2, s31
	s_cbranch_execz .LBB1_100
; %bb.99:                               ;   in Loop: Header=BB1_19 Depth=1
	v_sub_f32_e32 v1, v10, v8
	s_delay_alu instid0(VALU_DEP_1) | instskip(NEXT) | instid1(VALU_DEP_1)
	v_div_scale_f32 v9, null, v27, v27, v1
	v_rcp_f32_e32 v10, v9
	v_nop
	s_delay_alu instid0(TRANS32_DEP_1) | instskip(NEXT) | instid1(VALU_DEP_1)
	v_fma_f32 v11, -v9, v10, 1.0
	v_fmac_f32_e32 v10, v11, v10
	v_div_scale_f32 v12, vcc_lo, v1, v27, v1
	s_delay_alu instid0(VALU_DEP_1) | instskip(NEXT) | instid1(VALU_DEP_1)
	v_mul_f32_e32 v11, v12, v10
	v_fma_f32 v13, -v9, v11, v12
	s_delay_alu instid0(VALU_DEP_1) | instskip(NEXT) | instid1(VALU_DEP_1)
	v_fmac_f32_e32 v11, v13, v10
	v_fma_f32 v9, -v9, v11, v12
	s_delay_alu instid0(VALU_DEP_1) | instskip(NEXT) | instid1(VALU_DEP_1)
	v_div_fmas_f32 v9, v9, v10, v11
	v_div_fixup_f32 v1, v9, v27, v1
	v_mov_b32_e32 v9, s96
.LBB1_100:                              ;   in Loop: Header=BB1_19 Depth=1
	s_or_b32 exec_lo, exec_lo, s2
.LBB1_101:                              ;   in Loop: Header=BB1_19 Depth=1
	s_and_not1_saveexec_b32 s2, s30
	s_cbranch_execz .LBB1_103
; %bb.102:                              ;   in Loop: Header=BB1_19 Depth=1
	v_sub_f32_e32 v1, v5, v8
	s_delay_alu instid0(VALU_DEP_1) | instskip(NEXT) | instid1(VALU_DEP_1)
	v_div_scale_f32 v9, null, v27, v27, v1
	v_rcp_f32_e32 v10, v9
	v_nop
	s_delay_alu instid0(TRANS32_DEP_1) | instskip(NEXT) | instid1(VALU_DEP_1)
	v_fma_f32 v11, -v9, v10, 1.0
	v_fmac_f32_e32 v10, v11, v10
	v_div_scale_f32 v12, vcc_lo, v1, v27, v1
	s_delay_alu instid0(VALU_DEP_1) | instskip(NEXT) | instid1(VALU_DEP_1)
	v_mul_f32_e32 v11, v12, v10
	v_fma_f32 v13, -v9, v11, v12
	s_delay_alu instid0(VALU_DEP_1) | instskip(NEXT) | instid1(VALU_DEP_1)
	v_fmac_f32_e32 v11, v13, v10
	v_fma_f32 v9, -v9, v11, v12
	s_delay_alu instid0(VALU_DEP_1) | instskip(NEXT) | instid1(VALU_DEP_1)
	v_div_fmas_f32 v9, v9, v10, v11
	v_div_fixup_f32 v1, v9, v27, v1
	v_mov_b32_e32 v9, 0
.LBB1_103:                              ;   in Loop: Header=BB1_19 Depth=1
	s_or_b32 exec_lo, exec_lo, s2
	s_delay_alu instid0(VALU_DEP_1) | instskip(NEXT) | instid1(VALU_DEP_3)
	v_cmp_lt_i32_e32 vcc_lo, -1, v9
	v_cmp_le_f32_e64 s2, v1, v0
	s_and_b32 s31, vcc_lo, s2
	s_mov_b32 s2, -1
	s_and_saveexec_b32 s30, s31
	s_cbranch_execz .LBB1_121
; %bb.104:                              ;   in Loop: Header=BB1_19 Depth=1
	v_dual_fma_f32 v11, v26, v1, v52 :: v_dual_mov_b32 v10, -1
	s_mov_b32 s31, exec_lo
	s_delay_alu instid0(VALU_DEP_1)
	v_cmpx_nlt_f32_e32 v11, v4
	s_cbranch_execz .LBB1_110
; %bb.105:                              ;   in Loop: Header=BB1_19 Depth=1
	global_load_b32 v10, v37, s[82:83]
	s_wait_loadcnt 0x0
	v_cmp_gt_f32_e32 vcc_lo, v11, v10
	v_cndmask_b32_e64 v10, 0, -1, vcc_lo
	s_or_b32 s2, vcc_lo, s97
	s_nor_b32 s100, vcc_lo, s98
	s_delay_alu instid0(VALU_DEP_1)
	v_cndmask_b32_e64 v10, s47, v10, s2
	s_wait_xcnt 0x0
	s_and_saveexec_b32 s2, s100
	s_cbranch_execz .LBB1_109
; %bb.106:                              ;   in Loop: Header=BB1_19 Depth=1
	v_dual_mov_b32 v10, s36 :: v_dual_mov_b32 v12, 0
	s_mov_b32 s100, 0
.LBB1_107:                              ;   Parent Loop BB1_19 Depth=1
                                        ; =>  This Inner Loop Header: Depth=2
	s_delay_alu instid0(VALU_DEP_1) | instskip(NEXT) | instid1(VALU_DEP_1)
	v_add_nc_u32_e32 v13, v12, v10
	v_lshrrev_b32_e32 v13, 1, v13
	global_load_b32 v14, v13, s[12:13] scale_offset
	s_wait_loadcnt 0x0
	v_cmp_nle_f32_e32 vcc_lo, v11, v14
	v_dual_cndmask_b32 v12, v12, v13, vcc_lo :: v_dual_cndmask_b32 v10, v13, v10, vcc_lo
	s_wait_xcnt 0x0
	s_delay_alu instid0(VALU_DEP_1) | instskip(NEXT) | instid1(VALU_DEP_1)
	v_sub_nc_u32_e32 v13, v10, v12
	v_cmp_gt_i32_e32 vcc_lo, 2, v13
	s_or_b32 s100, vcc_lo, s100
	s_delay_alu instid0(SALU_CYCLE_1)
	s_and_not1_b32 exec_lo, exec_lo, s100
	s_cbranch_execnz .LBB1_107
; %bb.108:                              ;   in Loop: Header=BB1_19 Depth=1
	s_or_b32 exec_lo, exec_lo, s100
	v_add_nc_u32_e32 v10, -1, v10
.LBB1_109:                              ;   in Loop: Header=BB1_19 Depth=1
	s_or_b32 exec_lo, exec_lo, s2
.LBB1_110:                              ;   in Loop: Header=BB1_19 Depth=1
	s_delay_alu instid0(SALU_CYCLE_1)
	s_or_b32 exec_lo, exec_lo, s31
	s_mov_b32 s2, -1
	s_mov_b32 s31, exec_lo
	v_cmpx_lt_i32_e32 -1, v10
	s_cbranch_execz .LBB1_120
; %bb.111:                              ;   in Loop: Header=BB1_19 Depth=1
	global_load_b32 v12, v37, s[68:69]
	v_fma_f32 v11, v68, v1, v25
	s_wait_loadcnt 0x0
	s_delay_alu instid0(VALU_DEP_1)
	v_cmp_nlt_f32_e32 vcc_lo, v11, v12
	v_mov_b32_e32 v12, -1
	s_wait_xcnt 0x0
	s_and_saveexec_b32 s100, vcc_lo
	s_cbranch_execz .LBB1_117
; %bb.112:                              ;   in Loop: Header=BB1_19 Depth=1
	global_load_b32 v12, v37, s[86:87]
	s_wait_loadcnt 0x0
	v_cmp_gt_f32_e32 vcc_lo, v11, v12
	v_cndmask_b32_e64 v12, 0, -1, vcc_lo
	s_or_b32 s2, vcc_lo, s94
	s_nor_b32 s101, vcc_lo, s95
	s_delay_alu instid0(VALU_DEP_1)
	v_cndmask_b32_e64 v12, s99, v12, s2
	s_wait_xcnt 0x0
	s_and_saveexec_b32 s2, s101
	s_cbranch_execz .LBB1_116
; %bb.113:                              ;   in Loop: Header=BB1_19 Depth=1
	v_dual_mov_b32 v12, s38 :: v_dual_mov_b32 v13, 0
	s_mov_b32 s101, 0
.LBB1_114:                              ;   Parent Loop BB1_19 Depth=1
                                        ; =>  This Inner Loop Header: Depth=2
	s_delay_alu instid0(VALU_DEP_1) | instskip(NEXT) | instid1(VALU_DEP_1)
	v_add_nc_u32_e32 v14, v13, v12
	v_lshrrev_b32_e32 v14, 1, v14
	global_load_b32 v15, v14, s[68:69] scale_offset
	s_wait_loadcnt 0x0
	v_cmp_nle_f32_e32 vcc_lo, v11, v15
	v_dual_cndmask_b32 v13, v13, v14 :: v_dual_cndmask_b32 v12, v14, v12
	s_wait_xcnt 0x0
	s_delay_alu instid0(VALU_DEP_1) | instskip(NEXT) | instid1(VALU_DEP_1)
	v_sub_nc_u32_e32 v14, v12, v13
	v_cmp_gt_i32_e32 vcc_lo, 2, v14
	s_or_b32 s101, vcc_lo, s101
	s_delay_alu instid0(SALU_CYCLE_1)
	s_and_not1_b32 exec_lo, exec_lo, s101
	s_cbranch_execnz .LBB1_114
; %bb.115:                              ;   in Loop: Header=BB1_19 Depth=1
	s_or_b32 exec_lo, exec_lo, s101
	v_add_nc_u32_e32 v12, -1, v12
.LBB1_116:                              ;   in Loop: Header=BB1_19 Depth=1
	s_or_b32 exec_lo, exec_lo, s2
.LBB1_117:                              ;   in Loop: Header=BB1_19 Depth=1
	s_delay_alu instid0(SALU_CYCLE_1)
	s_or_b32 exec_lo, exec_lo, s100
	s_mov_b32 s100, -1
	s_mov_b32 s2, exec_lo
	v_cmpx_lt_i32_e32 -1, v12
	s_cbranch_execz .LBB1_119
; %bb.118:                              ;   in Loop: Header=BB1_19 Depth=1
	v_mad_u32 v0, s37, v12, v9
	s_xor_b32 s100, exec_lo, -1
	s_delay_alu instid0(VALU_DEP_1) | instskip(NEXT) | instid1(VALU_DEP_1)
	v_mul_lo_u32 v0, v0, s36
	v_add3_u32 v2, v10, v0, 1
	v_mov_b32_e32 v0, v1
.LBB1_119:                              ;   in Loop: Header=BB1_19 Depth=1
	s_or_b32 exec_lo, exec_lo, s2
	s_delay_alu instid0(SALU_CYCLE_1)
	s_or_not1_b32 s2, s100, exec_lo
.LBB1_120:                              ;   in Loop: Header=BB1_19 Depth=1
	s_or_b32 exec_lo, exec_lo, s31
	s_delay_alu instid0(SALU_CYCLE_1)
	s_or_not1_b32 s2, s2, exec_lo
.LBB1_121:                              ;   in Loop: Header=BB1_19 Depth=1
	s_or_b32 exec_lo, exec_lo, s30
	s_and_saveexec_b32 s30, s2
	s_cbranch_execz .LBB1_147
; %bb.122:                              ;   in Loop: Header=BB1_19 Depth=1
	global_load_b32 v2, v37, s[68:69]
	v_cmp_nlt_f32_e64 s2, 0, v68
                                        ; implicit-def: $vgpr9
	s_wait_loadcnt 0x0
	v_cmp_nle_f32_e32 vcc_lo, v25, v2
	s_or_b32 s2, vcc_lo, s2
	s_wait_xcnt 0x0
	s_and_saveexec_b32 s31, s2
	s_delay_alu instid0(SALU_CYCLE_1)
	s_xor_b32 s31, exec_lo, s31
	s_cbranch_execz .LBB1_126
; %bb.123:                              ;   in Loop: Header=BB1_19 Depth=1
	global_load_b32 v2, v37, s[86:87]
	v_cmp_gt_f32_e64 s2, 0, v68
	v_mov_b32_e32 v9, -1
	s_wait_loadcnt 0x0
	v_cmp_ge_f32_e32 vcc_lo, v25, v2
	s_and_b32 s100, vcc_lo, s2
	s_wait_xcnt 0x0
	s_and_saveexec_b32 s2, s100
	s_cbranch_execz .LBB1_125
; %bb.124:                              ;   in Loop: Header=BB1_19 Depth=1
	v_sub_f32_e32 v1, v2, v25
	s_delay_alu instid0(VALU_DEP_1) | instskip(SKIP_1) | instid1(VALU_DEP_2)
	v_div_scale_f32 v2, null, v68, v68, v1
	v_div_scale_f32 v11, vcc_lo, v1, v68, v1
	v_rcp_f32_e32 v9, v2
	v_nop
	s_delay_alu instid0(TRANS32_DEP_1) | instskip(NEXT) | instid1(VALU_DEP_1)
	v_fma_f32 v10, -v2, v9, 1.0
	v_fmac_f32_e32 v9, v10, v9
	s_delay_alu instid0(VALU_DEP_1) | instskip(NEXT) | instid1(VALU_DEP_1)
	v_mul_f32_e32 v10, v11, v9
	v_fma_f32 v12, -v2, v10, v11
	s_delay_alu instid0(VALU_DEP_1) | instskip(NEXT) | instid1(VALU_DEP_1)
	v_fmac_f32_e32 v10, v12, v9
	v_fma_f32 v2, -v2, v10, v11
	s_delay_alu instid0(VALU_DEP_1) | instskip(SKIP_1) | instid1(VALU_DEP_2)
	v_div_fmas_f32 v2, v2, v9, v10
	v_mov_b32_e32 v9, s99
	v_div_fixup_f32 v1, v2, v68, v1
.LBB1_125:                              ;   in Loop: Header=BB1_19 Depth=1
	s_or_b32 exec_lo, exec_lo, s2
                                        ; implicit-def: $vgpr2
.LBB1_126:                              ;   in Loop: Header=BB1_19 Depth=1
	s_and_not1_saveexec_b32 s2, s31
	s_cbranch_execz .LBB1_128
; %bb.127:                              ;   in Loop: Header=BB1_19 Depth=1
	v_sub_f32_e32 v1, v2, v25
	s_delay_alu instid0(VALU_DEP_1) | instskip(SKIP_1) | instid1(VALU_DEP_2)
	v_div_scale_f32 v2, null, v68, v68, v1
	v_div_scale_f32 v11, vcc_lo, v1, v68, v1
	v_rcp_f32_e32 v9, v2
	v_nop
	s_delay_alu instid0(TRANS32_DEP_1) | instskip(NEXT) | instid1(VALU_DEP_1)
	v_fma_f32 v10, -v2, v9, 1.0
	v_fmac_f32_e32 v9, v10, v9
	s_delay_alu instid0(VALU_DEP_1) | instskip(NEXT) | instid1(VALU_DEP_1)
	v_mul_f32_e32 v10, v11, v9
	v_fma_f32 v12, -v2, v10, v11
	s_delay_alu instid0(VALU_DEP_1) | instskip(NEXT) | instid1(VALU_DEP_1)
	v_fmac_f32_e32 v10, v12, v9
	v_fma_f32 v2, -v2, v10, v11
	s_delay_alu instid0(VALU_DEP_1) | instskip(SKIP_1) | instid1(VALU_DEP_2)
	v_div_fmas_f32 v2, v2, v9, v10
	v_mov_b32_e32 v9, 0
	v_div_fixup_f32 v1, v2, v68, v1
.LBB1_128:                              ;   in Loop: Header=BB1_19 Depth=1
	s_or_b32 exec_lo, exec_lo, s2
	s_delay_alu instid0(VALU_DEP_2) | instskip(NEXT) | instid1(VALU_DEP_2)
	v_cmp_lt_i32_e32 vcc_lo, -1, v9
	v_cmp_le_f32_e64 s2, v1, v0
	v_mov_b32_e32 v2, 0
	s_and_b32 s2, vcc_lo, s2
	s_delay_alu instid0(SALU_CYCLE_1)
	s_and_saveexec_b32 s31, s2
	s_cbranch_execz .LBB1_146
; %bb.129:                              ;   in Loop: Header=BB1_19 Depth=1
	v_fma_f32 v2, v26, v1, v52
	s_delay_alu instid0(VALU_DEP_1)
	v_cmp_nlt_f32_e32 vcc_lo, v2, v4
	v_mov_b32_e32 v4, -1
	s_and_saveexec_b32 s100, vcc_lo
	s_cbranch_execz .LBB1_135
; %bb.130:                              ;   in Loop: Header=BB1_19 Depth=1
	global_load_b32 v4, v37, s[82:83]
	s_wait_loadcnt 0x0
	v_cmp_gt_f32_e32 vcc_lo, v2, v4
	v_cndmask_b32_e64 v4, 0, -1, vcc_lo
	s_or_b32 s2, vcc_lo, s97
	s_nor_b32 s101, vcc_lo, s98
	s_delay_alu instid0(VALU_DEP_1)
	v_cndmask_b32_e64 v4, s47, v4, s2
	s_wait_xcnt 0x0
	s_and_saveexec_b32 s2, s101
	s_cbranch_execz .LBB1_134
; %bb.131:                              ;   in Loop: Header=BB1_19 Depth=1
	v_dual_mov_b32 v4, s36 :: v_dual_mov_b32 v10, 0
	s_mov_b32 s101, 0
.LBB1_132:                              ;   Parent Loop BB1_19 Depth=1
                                        ; =>  This Inner Loop Header: Depth=2
	s_delay_alu instid0(VALU_DEP_1) | instskip(NEXT) | instid1(VALU_DEP_1)
	v_add_nc_u32_e32 v11, v10, v4
	v_lshrrev_b32_e32 v11, 1, v11
	global_load_b32 v12, v11, s[12:13] scale_offset
	s_wait_loadcnt 0x0
	v_cmp_nle_f32_e32 vcc_lo, v2, v12
	v_dual_cndmask_b32 v10, v10, v11, vcc_lo :: v_dual_cndmask_b32 v4, v11, v4, vcc_lo
	s_wait_xcnt 0x0
	s_delay_alu instid0(VALU_DEP_1) | instskip(NEXT) | instid1(VALU_DEP_1)
	v_sub_nc_u32_e32 v11, v4, v10
	v_cmp_gt_i32_e32 vcc_lo, 2, v11
	s_or_b32 s101, vcc_lo, s101
	s_delay_alu instid0(SALU_CYCLE_1)
	s_and_not1_b32 exec_lo, exec_lo, s101
	s_cbranch_execnz .LBB1_132
; %bb.133:                              ;   in Loop: Header=BB1_19 Depth=1
	s_or_b32 exec_lo, exec_lo, s101
	v_add_nc_u32_e32 v4, -1, v4
.LBB1_134:                              ;   in Loop: Header=BB1_19 Depth=1
	s_or_b32 exec_lo, exec_lo, s2
.LBB1_135:                              ;   in Loop: Header=BB1_19 Depth=1
	s_delay_alu instid0(SALU_CYCLE_1)
	s_or_b32 exec_lo, exec_lo, s100
	v_mov_b32_e32 v2, 0
	s_mov_b32 s100, exec_lo
	v_cmpx_lt_i32_e32 -1, v4
	s_cbranch_execz .LBB1_145
; %bb.136:                              ;   in Loop: Header=BB1_19 Depth=1
	v_fmac_f32_e32 v8, v27, v1
	s_delay_alu instid0(VALU_DEP_1)
	v_cmp_nlt_f32_e32 vcc_lo, v8, v5
	v_mov_b32_e32 v5, -1
	s_and_saveexec_b32 s101, vcc_lo
	s_cbranch_execz .LBB1_142
; %bb.137:                              ;   in Loop: Header=BB1_19 Depth=1
	global_load_b32 v2, v37, s[84:85]
	s_wait_loadcnt 0x0
	v_cmp_gt_f32_e32 vcc_lo, v8, v2
	v_cndmask_b32_e64 v2, 0, -1, vcc_lo
	s_or_b32 s2, vcc_lo, s92
	s_nor_b32 s102, vcc_lo, s93
	s_delay_alu instid0(VALU_DEP_1)
	v_cndmask_b32_e64 v5, s96, v2, s2
	s_wait_xcnt 0x0
	s_and_saveexec_b32 s2, s102
	s_cbranch_execz .LBB1_141
; %bb.138:                              ;   in Loop: Header=BB1_19 Depth=1
	v_dual_mov_b32 v2, s37 :: v_dual_mov_b32 v5, 0
	s_mov_b32 s102, 0
.LBB1_139:                              ;   Parent Loop BB1_19 Depth=1
                                        ; =>  This Inner Loop Header: Depth=2
	s_delay_alu instid0(VALU_DEP_1) | instskip(NEXT) | instid1(VALU_DEP_1)
	v_add_nc_u32_e32 v10, v5, v2
	v_lshrrev_b32_e32 v10, 1, v10
	global_load_b32 v11, v10, s[14:15] scale_offset
	s_wait_loadcnt 0x0
	v_cmp_nle_f32_e32 vcc_lo, v8, v11
	v_cndmask_b32_e32 v5, v5, v10, vcc_lo
	v_cndmask_b32_e32 v2, v10, v2, vcc_lo
	s_wait_xcnt 0x0
	s_delay_alu instid0(VALU_DEP_1) | instskip(NEXT) | instid1(VALU_DEP_1)
	v_sub_nc_u32_e32 v10, v2, v5
	v_cmp_gt_i32_e32 vcc_lo, 2, v10
	s_or_b32 s102, vcc_lo, s102
	s_delay_alu instid0(SALU_CYCLE_1)
	s_and_not1_b32 exec_lo, exec_lo, s102
	s_cbranch_execnz .LBB1_139
; %bb.140:                              ;   in Loop: Header=BB1_19 Depth=1
	s_or_b32 exec_lo, exec_lo, s102
	v_add_nc_u32_e32 v5, -1, v2
.LBB1_141:                              ;   in Loop: Header=BB1_19 Depth=1
	s_or_b32 exec_lo, exec_lo, s2
.LBB1_142:                              ;   in Loop: Header=BB1_19 Depth=1
	s_delay_alu instid0(SALU_CYCLE_1)
	s_or_b32 exec_lo, exec_lo, s101
	v_mov_b32_e32 v2, 0
	s_mov_b32 s2, exec_lo
	v_cmpx_lt_i32_e32 -1, v5
; %bb.143:                              ;   in Loop: Header=BB1_19 Depth=1
	v_mad_u32 v0, s37, v9, v5
	s_delay_alu instid0(VALU_DEP_1) | instskip(NEXT) | instid1(VALU_DEP_1)
	v_mul_lo_u32 v0, v0, s36
	v_add3_u32 v2, v4, v0, 1
	v_mov_b32_e32 v0, v1
; %bb.144:                              ;   in Loop: Header=BB1_19 Depth=1
	s_or_b32 exec_lo, exec_lo, s2
.LBB1_145:                              ;   in Loop: Header=BB1_19 Depth=1
	s_delay_alu instid0(SALU_CYCLE_1)
	s_or_b32 exec_lo, exec_lo, s100
.LBB1_146:                              ;   in Loop: Header=BB1_19 Depth=1
	s_delay_alu instid0(SALU_CYCLE_1)
	s_or_b32 exec_lo, exec_lo, s31
.LBB1_147:                              ;   in Loop: Header=BB1_19 Depth=1
	s_delay_alu instid0(SALU_CYCLE_1)
	s_or_b32 exec_lo, exec_lo, s30
.LBB1_148:                              ;   in Loop: Header=BB1_19 Depth=1
	s_delay_alu instid0(SALU_CYCLE_1)
	s_or_b32 exec_lo, exec_lo, s7
.LBB1_149:                              ;   in Loop: Header=BB1_19 Depth=1
	s_delay_alu instid0(SALU_CYCLE_1) | instskip(SKIP_4) | instid1(SALU_CYCLE_1)
	s_or_b32 exec_lo, exec_lo, s4
	v_cmp_eq_u32_e64 s2, 0, v2
	v_dual_mov_b32 v1, 0 :: v_dual_mov_b32 v67, 1
	v_mov_b32_e32 v33, -1
	s_and_b32 s4, s0, s2
	s_xor_b32 s7, s4, -1
	s_delay_alu instid0(SALU_CYCLE_1)
	s_and_saveexec_b32 s4, s7
	s_cbranch_execz .LBB1_157
; %bb.150:                              ;   in Loop: Header=BB1_19 Depth=1
	s_and_saveexec_b32 s7, s1
	s_cbranch_execz .LBB1_152
; %bb.151:                              ;   in Loop: Header=BB1_19 Depth=1
	v_div_scale_f32 v1, null, v7, v7, v0
	s_delay_alu instid0(VALU_DEP_1) | instskip(SKIP_2) | instid1(TRANS32_DEP_1)
	v_rcp_f32_e32 v4, v1
	s_wait_loadcnt 0x0
	v_nop
	v_fma_f32 v5, -v1, v4, 1.0
	s_delay_alu instid0(VALU_DEP_1) | instskip(SKIP_1) | instid1(VALU_DEP_1)
	v_fmac_f32_e32 v4, v5, v4
	v_div_scale_f32 v5, vcc_lo, v0, v7, v0
	v_mul_f32_e32 v6, v5, v4
	s_delay_alu instid0(VALU_DEP_1) | instskip(NEXT) | instid1(VALU_DEP_1)
	v_fma_f32 v8, -v1, v6, v5
	v_fmac_f32_e32 v6, v8, v4
	s_delay_alu instid0(VALU_DEP_1) | instskip(NEXT) | instid1(VALU_DEP_1)
	v_fma_f32 v1, -v1, v6, v5
	v_div_fmas_f32 v1, v1, v4, v6
	s_delay_alu instid0(VALU_DEP_1) | instskip(NEXT) | instid1(VALU_DEP_1)
	v_div_fixup_f32 v1, v1, v7, v0
	v_sub_f32_e64 v1, -v3, v1
	s_delay_alu instid0(VALU_DEP_1)
	v_max_num_f32_e32 v6, 0, v1
.LBB1_152:                              ;   in Loop: Header=BB1_19 Depth=1
	s_or_b32 exec_lo, exec_lo, s7
	v_mov_b32_e32 v33, v32
	s_mov_b32 s1, exec_lo
	v_cmpx_ne_u32_e64 v2, v36
	s_cbranch_execz .LBB1_154
; %bb.153:                              ;   in Loop: Header=BB1_19 Depth=1
	v_dual_mov_b32 v3, v37 :: v_dual_mov_b32 v36, v2
	s_wait_loadcnt 0x0
	s_delay_alu instid0(VALU_DEP_1)
	v_lshl_add_u64 v[4:5], v[2:3], 4, s[56:57]
	s_clause 0x1
	global_load_b32 v33, v[4:5], off
	global_load_b32 v35, v[4:5], off offset:8
	s_wait_loadcnt 0x1
	v_lshrrev_b32_e32 v29, 16, v33
.LBB1_154:                              ;   in Loop: Header=BB1_19 Depth=1
	s_wait_xcnt 0x0
	s_or_b32 exec_lo, exec_lo, s1
	v_mov_b32_e32 v67, 0
	s_mov_b32 s1, exec_lo
	s_wait_loadcnt 0x0
	v_cmpx_nle_f32_e32 v70, v35
; %bb.155:                              ;   in Loop: Header=BB1_19 Depth=1
	s_xor_b32 s0, s0, -1
	s_delay_alu instid0(SALU_CYCLE_1) | instskip(NEXT) | instid1(SALU_CYCLE_1)
	s_and_b32 s0, s2, s0
	v_cndmask_b32_e64 v67, 2, 1, s0
; %bb.156:                              ;   in Loop: Header=BB1_19 Depth=1
	s_or_b32 exec_lo, exec_lo, s1
	v_pk_fma_f32 v[52:53], v[26:27], v[0:1], v[52:53] op_sel_hi:[1,0,1]
	v_fmac_f32_e32 v25, v68, v0
	v_mov_b32_e32 v1, v36
.LBB1_157:                              ;   in Loop: Header=BB1_19 Depth=1
	s_or_b32 exec_lo, exec_lo, s4
	s_delay_alu instid0(VALU_DEP_1)
	v_mov_b32_e32 v36, v1
.LBB1_158:                              ;   in Loop: Header=BB1_19 Depth=1
	s_or_b32 exec_lo, exec_lo, s3
	v_and_b32_e32 v0, 0xff, v67
	s_mov_b32 s7, 0
	s_delay_alu instid0(VALU_DEP_1) | instskip(SKIP_1) | instid1(SALU_CYCLE_1)
	v_cmp_eq_u16_e32 vcc_lo, 2, v0
	s_and_b32 s0, s6, vcc_lo
	s_and_saveexec_b32 s2, s0
; %bb.159:                              ;   in Loop: Header=BB1_19 Depth=1
	v_cmp_eq_u16_e32 vcc_lo, v33, v32
	v_cmp_ne_u16_e64 s0, -1, v33
	v_cmp_nle_f32_e64 s1, 0x3727c5ac, v6
	v_mov_b32_e32 v67, 2
	s_and_b32 s0, vcc_lo, s0
	s_delay_alu instid0(SALU_CYCLE_1) | instskip(NEXT) | instid1(SALU_CYCLE_1)
	s_and_b32 s0, s1, s0
	s_and_b32 s7, s0, exec_lo
; %bb.160:                              ;   in Loop: Header=BB1_19 Depth=1
	s_or_b32 exec_lo, exec_lo, s2
	flat_load_u8 v0, v[42:43] scope:SCOPE_SYS
	s_wait_loadcnt_dscnt 0x0
	v_cmp_lt_u32_e32 vcc_lo, 1, v0
	v_add_nc_u32_e32 v0, 1, v0
	s_wait_xcnt 0x0
	s_and_saveexec_b32 s100, vcc_lo
	s_cbranch_execz .LBB1_162
; %bb.161:                              ;   in Loop: Header=BB1_19 Depth=1
	s_swap_pc_i64 s[30:31], s[52:53]
	v_mov_b32_e32 v0, 0
.LBB1_162:                              ;   in Loop: Header=BB1_19 Depth=1
	s_or_b32 exec_lo, exec_lo, s100
	s_and_saveexec_b32 s0, s5
	s_cbranch_execz .LBB1_164
; %bb.163:                              ;   in Loop: Header=BB1_19 Depth=1
	flat_store_b8 v[42:43], v0 scope:SCOPE_SYS
	s_wait_storecnt 0x0
.LBB1_164:                              ;   in Loop: Header=BB1_19 Depth=1
	s_wait_xcnt 0x0
	s_or_b32 exec_lo, exec_lo, s0
	v_lshl_add_u32 v0, v0, 7, v75
	s_mov_b32 s100, exec_lo
	ds_load_b32 v32, v0
	flat_load_u8 v0, v[42:43] scope:SCOPE_SYS
	s_wait_loadcnt_dscnt 0x0
	v_add_nc_u32_e32 v1, 1, v0
	s_wait_xcnt 0x0
	v_cmpx_lt_u32_e32 1, v0
	s_cbranch_execz .LBB1_166
; %bb.165:                              ;   in Loop: Header=BB1_19 Depth=1
	s_swap_pc_i64 s[30:31], s[52:53]
	v_mov_b32_e32 v1, 0
.LBB1_166:                              ;   in Loop: Header=BB1_19 Depth=1
	s_or_b32 exec_lo, exec_lo, s100
	s_and_saveexec_b32 s0, s5
	s_cbranch_execz .LBB1_168
; %bb.167:                              ;   in Loop: Header=BB1_19 Depth=1
	flat_store_b8 v[42:43], v1 scope:SCOPE_SYS
	s_wait_storecnt 0x0
.LBB1_168:                              ;   in Loop: Header=BB1_19 Depth=1
	s_wait_xcnt 0x0
	s_or_b32 exec_lo, exec_lo, s0
	v_dual_sub_f32 v2, 1.0, v66 :: v_dual_bitop2_b32 v0, 1, v29 bitop3:0x40
	s_delay_alu instid0(VALU_DEP_1) | instskip(NEXT) | instid1(VALU_DEP_2)
	v_cmp_eq_u32_e32 vcc_lo, 1, v0
	v_cmp_lt_f32_e64 s0, v32, v2
	s_and_b32 s1, s7, vcc_lo
	s_delay_alu instid0(SALU_CYCLE_1) | instskip(NEXT) | instid1(SALU_CYCLE_1)
	s_and_b32 s0, s1, s0
	v_cndmask_b32_e64 v67, v67, 3, s0
	s_xor_b32 s0, s0, -1
	s_delay_alu instid0(SALU_CYCLE_1) | instskip(NEXT) | instid1(SALU_CYCLE_1)
	s_and_b32 s0, s0, s7
	s_and_saveexec_b32 s1, s0
	s_cbranch_execz .LBB1_172
; %bb.169:                              ;   in Loop: Header=BB1_19 Depth=1
	v_and_b32_e32 v0, 0xffff, v33
	v_lshl_add_u32 v1, v1, 7, v75
	v_cmp_nlt_f32_e64 s0, 0x3f82d11e, v70
	v_mov_b32_e32 v67, 6
	s_delay_alu instid0(VALU_DEP_4)
	v_mad_u32_u24 v0, 0xc8, v0, v24
	ds_load_b32 v2, v1
	global_load_b64 v[4:5], v0, s[70:71] scale_offset
	s_wait_loadcnt 0x0
	v_fmac_f32_e32 v4, v23, v5
	s_wait_dscnt 0x0
	s_delay_alu instid0(VALU_DEP_1)
	v_cmp_nle_f32_e32 vcc_lo, v2, v4
	s_or_b32 s2, vcc_lo, s0
	s_wait_xcnt 0x0
	s_and_saveexec_b32 s0, s2
	s_cbranch_execz .LBB1_171
; %bb.170:                              ;   in Loop: Header=BB1_19 Depth=1
	v_ashrrev_i32_e32 v1, 31, v0
	s_delay_alu instid0(VALU_DEP_1) | instskip(SKIP_3) | instid1(VALU_DEP_1)
	v_lshl_add_u64 v[0:1], v[0:1], 3, s[72:73]
	global_load_b64 v[0:1], v[0:1], off
	s_wait_loadcnt 0x0
	v_fmac_f32_e32 v0, v23, v1
	v_cmp_lt_f32_e32 vcc_lo, v2, v0
	v_cndmask_b32_e64 v67, 5, 4, vcc_lo
.LBB1_171:                              ;   in Loop: Header=BB1_19 Depth=1
	s_or_b32 exec_lo, exec_lo, s0
.LBB1_172:                              ;   in Loop: Header=BB1_19 Depth=1
	s_delay_alu instid0(SALU_CYCLE_1) | instskip(SKIP_1) | instid1(VALU_DEP_1)
	s_or_b32 exec_lo, exec_lo, s1
	v_cndmask_b32_e64 v0, 0, 1, s6
	v_cmp_ne_u32_e32 vcc_lo, 0, v0
	s_and_saveexec_b32 s0, s5
	s_cbranch_execz .LBB1_174
; %bb.173:                              ;   in Loop: Header=BB1_19 Depth=1
	flat_load_b32 v0, v[56:57] scope:SCOPE_SYS
	s_wait_loadcnt 0x0
	s_bcnt1_i32_b32 s1, vcc_lo
	s_wait_dscnt 0x0
	v_add_nc_u32_e32 v0, s1, v0
	flat_store_b32 v[56:57], v0 scope:SCOPE_SYS
	s_wait_storecnt 0x0
	flat_load_b32 v0, v[58:59] scope:SCOPE_SYS
	s_wait_loadcnt_dscnt 0x0
	v_add_nc_u32_e32 v0, 1, v0
	flat_store_b32 v[58:59], v0 scope:SCOPE_SYS
	s_wait_storecnt 0x0
.LBB1_174:                              ;   in Loop: Header=BB1_19 Depth=1
	s_wait_xcnt 0x0
	s_or_b32 exec_lo, exec_lo, s0
.LBB1_175:                              ;   in Loop: Header=BB1_19 Depth=1
	v_cndmask_b32_e64 v4, 0, 1, s6
	s_mov_b32 s100, -1
	s_delay_alu instid0(VALU_DEP_1)
	v_cmp_ne_u32_e32 vcc_lo, 0, v4
	s_cmp_eq_u32 vcc_lo, exec_lo
	s_cbranch_scc1 .LBB1_253
; %bb.176:                              ;   in Loop: Header=BB1_19 Depth=1
	v_and_b32_e32 v0, 0xff, v67
	s_delay_alu instid0(VALU_DEP_1)
	v_cmp_eq_u16_e64 s7, 7, v0
	s_mov_b32 vcc_lo, s7
	s_cbranch_vccz .LBB1_197
; %bb.177:                              ;   in Loop: Header=BB1_19 Depth=1
	flat_load_u8 v0, v[42:43] scope:SCOPE_SYS
	s_wait_loadcnt_dscnt 0x0
	v_cmp_lt_u32_e32 vcc_lo, 1, v0
	v_add_nc_u32_e32 v0, 1, v0
	s_wait_xcnt 0x0
	s_and_saveexec_b32 s101, vcc_lo
	s_cbranch_execz .LBB1_179
; %bb.178:                              ;   in Loop: Header=BB1_19 Depth=1
	s_swap_pc_i64 s[30:31], s[52:53]
	v_mov_b32_e32 v0, 0
.LBB1_179:                              ;   in Loop: Header=BB1_19 Depth=1
	s_or_b32 exec_lo, exec_lo, s101
	s_and_saveexec_b32 s0, s5
	s_cbranch_execz .LBB1_181
; %bb.180:                              ;   in Loop: Header=BB1_19 Depth=1
	flat_store_b8 v[42:43], v0 scope:SCOPE_SYS
	s_wait_storecnt 0x0
.LBB1_181:                              ;   in Loop: Header=BB1_19 Depth=1
	s_wait_xcnt 0x0
	s_or_b32 exec_lo, exec_lo, s0
	v_lshl_add_u32 v0, v0, 7, v75
	ds_load_b32 v32, v0
	flat_load_u8 v0, v[42:43] scope:SCOPE_SYS
	s_wait_loadcnt_dscnt 0x0
	v_cmp_lt_u32_e32 vcc_lo, 1, v0
	v_add_nc_u32_e32 v0, 1, v0
	s_wait_xcnt 0x0
	s_and_saveexec_b32 s101, vcc_lo
	s_cbranch_execz .LBB1_183
; %bb.182:                              ;   in Loop: Header=BB1_19 Depth=1
	s_swap_pc_i64 s[30:31], s[52:53]
	v_mov_b32_e32 v0, 0
.LBB1_183:                              ;   in Loop: Header=BB1_19 Depth=1
	s_or_b32 exec_lo, exec_lo, s101
	s_and_saveexec_b32 s0, s5
	s_cbranch_execz .LBB1_185
; %bb.184:                              ;   in Loop: Header=BB1_19 Depth=1
	flat_store_b8 v[42:43], v0 scope:SCOPE_SYS
	s_wait_storecnt 0x0
.LBB1_185:                              ;   in Loop: Header=BB1_19 Depth=1
	s_wait_xcnt 0x0
	s_or_b32 exec_lo, exec_lo, s0
	v_lshl_add_u32 v0, v0, 7, v75
	ds_load_b32 v33, v0
	;; [unrolled: 22-line block ×3, first 2 shown]
	flat_load_u8 v0, v[42:43] scope:SCOPE_SYS
	s_wait_loadcnt_dscnt 0x0
	v_cmp_lt_u32_e32 vcc_lo, 1, v0
	v_add_nc_u32_e32 v0, 1, v0
	s_wait_xcnt 0x0
	s_and_saveexec_b32 s101, vcc_lo
	s_cbranch_execnz .LBB1_247
; %bb.190:                              ;   in Loop: Header=BB1_19 Depth=1
	s_or_b32 exec_lo, exec_lo, s101
	s_and_saveexec_b32 s0, s5
	s_cbranch_execnz .LBB1_248
.LBB1_191:                              ;   in Loop: Header=BB1_19 Depth=1
	s_or_b32 exec_lo, exec_lo, s0
	v_mov_b32_e32 v3, 0
	s_and_saveexec_b32 s1, s7
	s_cbranch_execnz .LBB1_249
.LBB1_192:                              ;   in Loop: Header=BB1_19 Depth=1
	s_or_b32 exec_lo, exec_lo, s1
	flat_store_b32 v[60:61], v3 scope:SCOPE_SYS
	s_wait_storecnt 0x0
	s_wait_xcnt 0x0
	s_and_saveexec_b32 s0, s5
	s_cbranch_execz .LBB1_194
.LBB1_193:                              ;   in Loop: Header=BB1_19 Depth=1
	flat_load_b32 v0, v[46:47] scope:SCOPE_SYS
	s_wait_loadcnt 0x0
	scratch_load_b64 v[2:3], off, off       ; 8-byte Folded Reload
	s_wait_dscnt 0x0
	v_cvt_f64_f32_e32 v[0:1], v0
	s_wait_loadcnt 0x0
	flat_load_b32 v2, v[2:3] scope:SCOPE_SYS
	s_wait_loadcnt 0x0
	v_add_f64_e32 v[0:1], 0, v[0:1]
	s_wait_dscnt 0x0
	s_wait_xcnt 0x0
	v_cvt_f64_f32_e32 v[2:3], v2
	s_delay_alu instid0(VALU_DEP_1)
	v_add_f64_e32 v[0:1], v[0:1], v[2:3]
	scratch_load_b64 v[2:3], off, off offset:8 ; 8-byte Folded Reload
	s_wait_loadcnt 0x0
	flat_load_b32 v2, v[2:3] scope:SCOPE_SYS
	s_wait_loadcnt_dscnt 0x0
	v_cvt_f64_f32_e32 v[2:3], v2
	s_delay_alu instid0(VALU_DEP_1)
	v_add_f64_e32 v[0:1], v[0:1], v[2:3]
	scratch_load_b64 v[2:3], off, off offset:16 ; 8-byte Folded Reload
	s_wait_loadcnt 0x0
	flat_load_b32 v2, v[2:3] scope:SCOPE_SYS
	s_wait_loadcnt_dscnt 0x0
	v_cvt_f64_f32_e32 v[2:3], v2
	s_delay_alu instid0(VALU_DEP_1) | instskip(SKIP_3) | instid1(VALU_DEP_1)
	v_add_f64_e32 v[0:1], v[0:1], v[2:3]
	flat_load_b32 v2, v[80:81] scope:SCOPE_SYS
	s_wait_loadcnt_dscnt 0x0
	v_cvt_f64_f32_e32 v[2:3], v2
	v_add_f64_e32 v[0:1], v[0:1], v[2:3]
	flat_load_b32 v2, v[82:83] scope:SCOPE_SYS
	s_wait_loadcnt_dscnt 0x0
	v_cvt_f64_f32_e32 v[2:3], v2
	s_delay_alu instid0(VALU_DEP_1) | instskip(SKIP_3) | instid1(VALU_DEP_1)
	v_add_f64_e32 v[0:1], v[0:1], v[2:3]
	flat_load_b32 v2, v[84:85] scope:SCOPE_SYS
	s_wait_loadcnt_dscnt 0x0
	v_cvt_f64_f32_e32 v[2:3], v2
	v_add_f64_e32 v[0:1], v[0:1], v[2:3]
	;; [unrolled: 9-line block ×14, first 2 shown]
	flat_load_b32 v2, v[72:73] scope:SCOPE_SYS
	s_wait_loadcnt_dscnt 0x0
	v_cvt_f64_f32_e32 v[2:3], v2
	s_delay_alu instid0(VALU_DEP_1)
	v_add_f64_e32 v[0:1], v[0:1], v[2:3]
	flat_load_b64 v[2:3], v[40:41] scope:SCOPE_SYS
	s_wait_loadcnt_dscnt 0x0
	v_add_f64_e32 v[0:1], v[0:1], v[2:3]
	flat_store_b64 v[40:41], v[0:1] scope:SCOPE_SYS
	s_wait_storecnt 0x0
.LBB1_194:                              ;   in Loop: Header=BB1_19 Depth=1
	s_wait_xcnt 0x0
	s_or_b32 exec_lo, exec_lo, s0
	v_cndmask_b32_e64 v0, 0, 1, s7
	s_delay_alu instid0(VALU_DEP_1)
	v_cmp_ne_u32_e32 vcc_lo, 0, v0
	s_and_saveexec_b32 s0, s5
	s_cbranch_execz .LBB1_196
; %bb.195:                              ;   in Loop: Header=BB1_19 Depth=1
	flat_load_b32 v0, v[62:63] scope:SCOPE_SYS
	s_wait_loadcnt 0x0
	s_bcnt1_i32_b32 s1, vcc_lo
	s_wait_dscnt 0x0
	v_add_nc_u32_e32 v0, s1, v0
	flat_store_b32 v[62:63], v0 scope:SCOPE_SYS
	s_wait_storecnt 0x0
	flat_load_b32 v0, v[58:59] scope:SCOPE_SYS
	s_wait_loadcnt_dscnt 0x0
	v_add_nc_u32_e32 v0, 1, v0
	flat_store_b32 v[58:59], v0 scope:SCOPE_SYS
	s_wait_storecnt 0x0
.LBB1_196:                              ;   in Loop: Header=BB1_19 Depth=1
	s_wait_xcnt 0x0
	s_or_b32 exec_lo, exec_lo, s0
.LBB1_197:                              ;   in Loop: Header=BB1_19 Depth=1
	s_or_b32 s6, s6, s7
	s_delay_alu instid0(SALU_CYCLE_1) | instskip(NEXT) | instid1(VALU_DEP_1)
	v_cndmask_b32_e64 v0, 0, 1, s6
	v_cmp_ne_u32_e32 vcc_lo, 0, v0
	s_cmp_eq_u32 vcc_lo, exec_lo
	s_cbranch_scc1 .LBB1_246
; %bb.198:                              ;   in Loop: Header=BB1_19 Depth=1
	v_and_b32_e32 v0, 0xff, v67
	s_delay_alu instid0(VALU_DEP_1)
	v_cmp_eq_u16_e64 s0, 1, v0
	s_mov_b32 vcc_lo, s0
	s_cbranch_vccz .LBB1_220
; %bb.199:                              ;   in Loop: Header=BB1_19 Depth=1
	s_and_saveexec_b32 s7, s0
	s_cbranch_execz .LBB1_217
; %bb.200:                              ;   in Loop: Header=BB1_19 Depth=1
	v_and_b32_e32 v0, 0xff, v74
	v_cmp_eq_u32_e64 s1, 0, v36
	v_cmp_neq_f32_e64 s2, 0, v68
	s_delay_alu instid0(VALU_DEP_3) | instskip(SKIP_1) | instid1(SALU_CYCLE_1)
	v_cmp_eq_u16_e32 vcc_lo, 0, v0
	s_and_b32 s1, vcc_lo, s1
	s_and_b32 s1, s1, s2
	s_delay_alu instid0(SALU_CYCLE_1)
	s_and_saveexec_b32 s30, s1
	s_cbranch_execz .LBB1_216
; %bb.201:                              ;   in Loop: Header=BB1_19 Depth=1
	v_sub_f32_e32 v0, s42, v25
	s_mov_b32 s31, exec_lo
	s_delay_alu instid0(VALU_DEP_1) | instskip(NEXT) | instid1(VALU_DEP_1)
	v_div_scale_f32 v1, null, v68, v68, v0
	v_rcp_f32_e32 v2, v1
	v_nop
	s_delay_alu instid0(TRANS32_DEP_1) | instskip(NEXT) | instid1(VALU_DEP_1)
	v_fma_f32 v3, -v1, v2, 1.0
	v_fmac_f32_e32 v2, v3, v2
	v_div_scale_f32 v3, vcc_lo, v0, v68, v0
	s_delay_alu instid0(VALU_DEP_1) | instskip(NEXT) | instid1(VALU_DEP_1)
	v_mul_f32_e32 v4, v3, v2
	v_fma_f32 v5, -v1, v4, v3
	s_delay_alu instid0(VALU_DEP_1) | instskip(NEXT) | instid1(VALU_DEP_1)
	v_fmac_f32_e32 v4, v5, v2
	v_fma_f32 v1, -v1, v4, v3
	s_delay_alu instid0(VALU_DEP_1) | instskip(NEXT) | instid1(VALU_DEP_1)
	v_div_fmas_f32 v1, v1, v2, v4
	v_div_fixup_f32 v1, v1, v68, v0
	s_delay_alu instid0(VALU_DEP_1)
	v_cmpx_ngt_f32_e32 0, v1
	s_cbranch_execz .LBB1_215
; %bb.202:                              ;   in Loop: Header=BB1_19 Depth=1
	v_fma_f32 v0, v26, v1, v52
	s_delay_alu instid0(VALU_DEP_1) | instskip(NEXT) | instid1(VALU_DEP_1)
	v_subrev_f32_e32 v0, s40, v0
	v_div_scale_f32 v2, null, s20, s20, v0
	v_div_scale_f32 v5, vcc_lo, v0, s20, v0
	s_delay_alu instid0(VALU_DEP_2) | instskip(SKIP_1) | instid1(TRANS32_DEP_1)
	v_rcp_f32_e32 v3, v2
	v_nop
	v_fma_f32 v4, -v2, v3, 1.0
	s_delay_alu instid0(VALU_DEP_1) | instskip(NEXT) | instid1(VALU_DEP_1)
	v_fmac_f32_e32 v3, v4, v3
	v_mul_f32_e32 v4, v5, v3
	s_delay_alu instid0(VALU_DEP_1) | instskip(NEXT) | instid1(VALU_DEP_1)
	v_fma_f32 v6, -v2, v4, v5
	v_fmac_f32_e32 v4, v6, v3
	s_delay_alu instid0(VALU_DEP_1) | instskip(NEXT) | instid1(VALU_DEP_1)
	v_fma_f32 v2, -v2, v4, v5
	v_div_fmas_f32 v2, v2, v3, v4
	s_delay_alu instid0(VALU_DEP_1) | instskip(NEXT) | instid1(VALU_DEP_1)
	v_div_fixup_f32 v0, v2, s20, v0
	v_add_f32_e32 v3, s90, v0
	s_delay_alu instid0(VALU_DEP_1) | instskip(SKIP_2) | instid1(VALU_DEP_2)
	v_floor_f32_e32 v2, v3
	v_sub_nc_u32_e32 v0, 0x80000000, v3
	v_cmp_gt_i32_e32 vcc_lo, 0, v3
	v_dual_cndmask_b32 v4, v3, v0 :: v_dual_sub_nc_u32 v5, 0x80000000, v2
	v_cmp_gt_i32_e32 vcc_lo, 0, v2
	s_delay_alu instid0(VALU_DEP_2) | instskip(NEXT) | instid1(VALU_DEP_1)
	v_cndmask_b32_e32 v0, v2, v5, vcc_lo
	v_sub_nc_u32_e32 v0, v4, v0
	s_delay_alu instid0(VALU_DEP_1) | instskip(NEXT) | instid1(VALU_DEP_1)
	v_sub_nc_u32_e32 v5, 0, v0
	v_max_i32_e32 v0, v0, v5
	s_delay_alu instid0(VALU_DEP_1)
	v_cmp_lt_u32_e32 vcc_lo, 20, v0
	v_mov_b32_e32 v0, 1
	s_and_saveexec_b32 s1, vcc_lo
	s_cbranch_execz .LBB1_204
; %bb.203:                              ;   in Loop: Header=BB1_19 Depth=1
	v_ceil_f32_e32 v0, v3
	s_delay_alu instid0(VALU_DEP_1) | instskip(SKIP_1) | instid1(VALU_DEP_2)
	v_sub_nc_u32_e32 v3, 0x80000000, v0
	v_cmp_gt_i32_e32 vcc_lo, 0, v0
	v_cndmask_b32_e32 v3, v0, v3, vcc_lo
	s_delay_alu instid0(VALU_DEP_1) | instskip(NEXT) | instid1(VALU_DEP_1)
	v_sub_nc_u32_e32 v3, v4, v3
	v_sub_nc_u32_e32 v4, 0, v3
	s_delay_alu instid0(VALU_DEP_1) | instskip(NEXT) | instid1(VALU_DEP_1)
	v_max_i32_e32 v3, v3, v4
	v_cmp_gt_u32_e32 vcc_lo, 21, v3
	v_cndmask_b32_e32 v2, v2, v0, vcc_lo
	v_cndmask_b32_e64 v0, 0, 1, vcc_lo
.LBB1_204:                              ;   in Loop: Header=BB1_19 Depth=1
	s_or_b32 exec_lo, exec_lo, s1
	v_fma_f32 v1, v27, v1, v53
	s_delay_alu instid0(VALU_DEP_1) | instskip(NEXT) | instid1(VALU_DEP_1)
	v_subrev_f32_e32 v1, s41, v1
	v_div_scale_f32 v3, null, s21, s21, v1
	v_div_scale_f32 v6, vcc_lo, v1, s21, v1
	s_delay_alu instid0(VALU_DEP_2) | instskip(SKIP_1) | instid1(TRANS32_DEP_1)
	v_rcp_f32_e32 v4, v3
	v_nop
	v_fma_f32 v5, -v3, v4, 1.0
	s_delay_alu instid0(VALU_DEP_1) | instskip(NEXT) | instid1(VALU_DEP_1)
	v_fmac_f32_e32 v4, v5, v4
	v_mul_f32_e32 v5, v6, v4
	s_delay_alu instid0(VALU_DEP_1) | instskip(NEXT) | instid1(VALU_DEP_1)
	v_fma_f32 v7, -v3, v5, v6
	v_fmac_f32_e32 v5, v7, v4
	s_delay_alu instid0(VALU_DEP_1) | instskip(NEXT) | instid1(VALU_DEP_1)
	v_fma_f32 v3, -v3, v5, v6
	v_div_fmas_f32 v3, v3, v4, v5
	s_delay_alu instid0(VALU_DEP_1) | instskip(NEXT) | instid1(VALU_DEP_1)
	v_div_fixup_f32 v1, v3, s21, v1
	v_add_f32_e32 v1, s91, v1
	s_delay_alu instid0(VALU_DEP_1) | instskip(SKIP_2) | instid1(VALU_DEP_2)
	v_floor_f32_e32 v4, v1
	v_sub_nc_u32_e32 v3, 0x80000000, v1
	v_cmp_gt_i32_e32 vcc_lo, 0, v1
	v_dual_cndmask_b32 v5, v1, v3 :: v_dual_sub_nc_u32 v6, 0x80000000, v4
	v_cmp_gt_i32_e32 vcc_lo, 0, v4
	s_delay_alu instid0(VALU_DEP_2) | instskip(NEXT) | instid1(VALU_DEP_1)
	v_cndmask_b32_e32 v3, v4, v6, vcc_lo
	v_sub_nc_u32_e32 v3, v5, v3
	s_delay_alu instid0(VALU_DEP_1) | instskip(NEXT) | instid1(VALU_DEP_1)
	v_sub_nc_u32_e32 v6, 0, v3
	v_max_i32_e32 v3, v3, v6
	s_delay_alu instid0(VALU_DEP_1) | instskip(SKIP_2) | instid1(SALU_CYCLE_1)
	v_cmp_lt_u32_e32 vcc_lo, 20, v3
	v_or_b32_e32 v3, 2, v0
	s_and_saveexec_b32 s1, vcc_lo
	s_xor_b32 s1, exec_lo, s1
	s_cbranch_execz .LBB1_206
; %bb.205:                              ;   in Loop: Header=BB1_19 Depth=1
	v_ceil_f32_e32 v1, v1
	s_delay_alu instid0(VALU_DEP_1) | instskip(SKIP_1) | instid1(VALU_DEP_2)
	v_sub_nc_u32_e32 v3, 0x80000000, v1
	v_cmp_gt_i32_e32 vcc_lo, 0, v1
	v_cndmask_b32_e32 v3, v1, v3, vcc_lo
	s_delay_alu instid0(VALU_DEP_1) | instskip(NEXT) | instid1(VALU_DEP_1)
	v_sub_nc_u32_e32 v3, v5, v3
	v_sub_nc_u32_e32 v5, 0, v3
	s_delay_alu instid0(VALU_DEP_1) | instskip(SKIP_1) | instid1(VALU_DEP_2)
	v_max_i32_e32 v3, v3, v5
	v_or_b32_e32 v5, 2, v0
	v_cmp_gt_u32_e32 vcc_lo, 21, v3
	v_cndmask_b32_e32 v4, v4, v1, vcc_lo
	s_delay_alu instid0(VALU_DEP_3)
	v_cndmask_b32_e32 v3, v0, v5, vcc_lo
.LBB1_206:                              ;   in Loop: Header=BB1_19 Depth=1
	s_and_not1_saveexec_b32 s1, s1
	s_delay_alu instid0(SALU_CYCLE_1)
	s_or_b32 exec_lo, exec_lo, s1
	s_mov_b32 s2, 0
	s_mov_b32 s1, exec_lo
                                        ; implicit-def: $vgpr0_vgpr1
	v_cmpx_lt_i32_e32 0, v22
	s_xor_b32 s1, exec_lo, s1
	s_cbranch_execnz .LBB1_308
; %bb.207:                              ;   in Loop: Header=BB1_19 Depth=1
	s_and_not1_saveexec_b32 s1, s1
	s_cbranch_execnz .LBB1_317
.LBB1_208:                              ;   in Loop: Header=BB1_19 Depth=1
	s_or_b32 exec_lo, exec_lo, s1
	s_and_saveexec_b32 s1, s2
.LBB1_209:                              ;   in Loop: Header=BB1_19 Depth=1
	v_mov_b64_e32 v[0:1], 3
.LBB1_210:                              ;   in Loop: Header=BB1_19 Depth=1
	s_or_b32 exec_lo, exec_lo, s1
	v_cvt_i32_f32_e32 v6, v4
	v_cvt_i32_f32_e32 v5, v2
	s_mov_b32 s4, 0
                                        ; implicit-def: $vgpr2
                                        ; implicit-def: $vgpr4
	s_mov_b32 s1, exec_lo
	v_cmpx_lt_i32_e32 1, v3
	s_xor_b32 s101, exec_lo, s1
	s_cbranch_execnz .LBB1_318
; %bb.211:                              ;   in Loop: Header=BB1_19 Depth=1
	s_and_not1_saveexec_b32 s101, s101
	s_cbranch_execnz .LBB1_342
.LBB1_212:                              ;   in Loop: Header=BB1_19 Depth=1
	s_or_b32 exec_lo, exec_lo, s101
	s_and_saveexec_b32 s1, s4
	s_cbranch_execz .LBB1_214
.LBB1_213:                              ;   in Loop: Header=BB1_19 Depth=1
	v_lshlrev_b64_e32 v[0:1], 3, v[0:1]
	v_mov_b32_e32 v5, v37
	s_delay_alu instid0(VALU_DEP_1) | instskip(NEXT) | instid1(VALU_DEP_3)
	v_lshlrev_b64_e32 v[4:5], 2, v[4:5]
	v_add_nc_u64_e32 v[6:7], s[34:35], v[0:1]
	v_add_nc_u64_e32 v[0:1], s[48:49], v[0:1]
	global_load_b64 v[6:7], v[6:7], off
	s_wait_loadcnt 0x0
	v_add_nc_u64_e32 v[6:7], v[6:7], v[4:5]
	global_atomic_add_f32 v[6:7], v71, off scope:SCOPE_DEV
	global_load_b64 v[0:1], v[0:1], off
	s_wait_loadcnt 0x0
	v_add_nc_u64_e32 v[0:1], v[0:1], v[4:5]
	global_atomic_add_f32 v[0:1], v2, off scope:SCOPE_DEV
.LBB1_214:                              ;   in Loop: Header=BB1_19 Depth=1
	s_wait_xcnt 0x0
	s_or_b32 exec_lo, exec_lo, s1
.LBB1_215:                              ;   in Loop: Header=BB1_19 Depth=1
	s_delay_alu instid0(SALU_CYCLE_1)
	s_or_b32 exec_lo, exec_lo, s31
.LBB1_216:                              ;   in Loop: Header=BB1_19 Depth=1
	s_delay_alu instid0(SALU_CYCLE_1)
	s_or_b32 exec_lo, exec_lo, s30
	v_mov_b32_e32 v67, 8
.LBB1_217:                              ;   in Loop: Header=BB1_19 Depth=1
	s_or_b32 exec_lo, exec_lo, s7
	v_cndmask_b32_e64 v0, 0, 1, s0
	s_delay_alu instid0(VALU_DEP_1)
	v_cmp_ne_u32_e32 vcc_lo, 0, v0
	s_and_saveexec_b32 s1, s5
	s_cbranch_execz .LBB1_219
; %bb.218:                              ;   in Loop: Header=BB1_19 Depth=1
	scratch_load_b64 v[2:3], off, off offset:24 ; 8-byte Folded Reload
	s_bcnt1_i32_b32 s2, vcc_lo
	s_wait_loadcnt 0x0
	flat_load_b32 v0, v[2:3] scope:SCOPE_SYS
	s_wait_loadcnt_dscnt 0x0
	v_add_nc_u32_e32 v0, s2, v0
	flat_store_b32 v[2:3], v0 scope:SCOPE_SYS
	s_wait_storecnt 0x0
	flat_load_b32 v0, v[58:59] scope:SCOPE_SYS
	s_wait_loadcnt_dscnt 0x0
	v_add_nc_u32_e32 v0, 1, v0
	flat_store_b32 v[58:59], v0 scope:SCOPE_SYS
	s_wait_storecnt 0x0
.LBB1_219:                              ;   in Loop: Header=BB1_19 Depth=1
	s_wait_xcnt 0x0
	s_or_b32 exec_lo, exec_lo, s1
.LBB1_220:                              ;   in Loop: Header=BB1_19 Depth=1
	s_or_b32 s101, s6, s0
	s_delay_alu instid0(SALU_CYCLE_1) | instskip(NEXT) | instid1(VALU_DEP_1)
	v_cndmask_b32_e64 v0, 0, 1, s101
	v_cmp_ne_u32_e32 vcc_lo, 0, v0
	s_cmp_eq_u32 vcc_lo, exec_lo
	s_cbranch_scc1 .LBB1_252
; %bb.221:                              ;   in Loop: Header=BB1_19 Depth=1
	v_and_b32_e32 v0, 0xff, v67
	s_delay_alu instid0(VALU_DEP_1)
	v_cmp_eq_u16_e64 s6, 4, v0
	s_mov_b32 vcc_lo, s6
	s_cbranch_vccz .LBB1_269
; %bb.222:                              ;   in Loop: Header=BB1_19 Depth=1
	v_div_scale_f32 v0, null, 0x3f02d11e, 0x3f02d11e, v70
	v_div_scale_f32 v3, vcc_lo, v70, 0x3f02d11e, v70
	s_xor_b32 s102, s6, -1
	v_rcp_f32_e32 v1, v0
	v_dual_mov_b32 v33, 0 :: v_dual_mov_b32 v77, 0
	v_mov_b32_e32 v35, 0
	s_delay_alu instid0(TRANS32_DEP_1) | instskip(NEXT) | instid1(VALU_DEP_1)
	v_fma_f32 v2, -v0, v1, 1.0
	v_fmac_f32_e32 v1, v2, v1
	s_delay_alu instid0(VALU_DEP_1) | instskip(NEXT) | instid1(VALU_DEP_1)
	v_mul_f32_e32 v2, v3, v1
	v_fma_f32 v4, -v0, v2, v3
	s_delay_alu instid0(VALU_DEP_1) | instskip(NEXT) | instid1(VALU_DEP_1)
	v_fmac_f32_e32 v2, v4, v1
	v_fma_f32 v0, -v0, v2, v3
	s_delay_alu instid0(VALU_DEP_1) | instskip(NEXT) | instid1(VALU_DEP_1)
	v_div_fmas_f32 v0, v0, v1, v2
	v_div_fixup_f32 v23, v0, 0x3f02d11e, v70
	s_delay_alu instid0(VALU_DEP_1) | instskip(SKIP_1) | instid1(VALU_DEP_2)
	v_fma_f32 v0, v23, 2.0, 1.0
	v_cmp_nlt_f32_e64 s7, 2.0, v23
	v_div_scale_f32 v1, null, v0, v0, 1.0
	v_cmp_gt_f32_e64 s0, 0x800000, v0
	v_div_scale_f32 v5, vcc_lo, 1.0, v0, 1.0
	s_delay_alu instid0(VALU_DEP_3) | instskip(SKIP_1) | instid1(VALU_DEP_3)
	v_rcp_f32_e32 v2, v1
	v_mul_f32_e32 v66, v0, v0
	v_cndmask_b32_e64 v3, 0, 32, s0
	s_delay_alu instid0(TRANS32_DEP_1) | instskip(NEXT) | instid1(VALU_DEP_2)
	v_fma_f32 v4, -v1, v2, 1.0
	v_ldexp_f32 v3, v0, v3
	s_delay_alu instid0(VALU_DEP_2) | instskip(NEXT) | instid1(VALU_DEP_2)
	v_fmac_f32_e32 v2, v4, v2
	v_log_f32_e32 v3, v3
	s_delay_alu instid0(VALU_DEP_1) | instskip(NEXT) | instid1(TRANS32_DEP_1)
	v_mul_f32_e32 v4, v5, v2
	v_mul_f32_e32 v6, 0x3f317217, v3
	s_delay_alu instid0(VALU_DEP_2) | instskip(NEXT) | instid1(VALU_DEP_2)
	v_fma_f32 v7, -v1, v4, v5
	v_fma_f32 v6, 0x3f317217, v3, -v6
	s_delay_alu instid0(VALU_DEP_2) | instskip(NEXT) | instid1(VALU_DEP_1)
	v_fmac_f32_e32 v4, v7, v2
	v_fma_f32 v1, -v1, v4, v5
	v_add_f32_e32 v5, 1.0, v0
	s_delay_alu instid0(VALU_DEP_2) | instskip(SKIP_2) | instid1(VALU_DEP_4)
	v_div_fmas_f32 v1, v1, v2, v4
	v_cndmask_b32_e64 v2, 0, 0x41b17218, s0
	v_fmac_f32_e32 v6, 0x3377d1cf, v3
	v_mul_f32_e32 v4, v23, v5
	v_cmp_gt_f32_e64 vcc_lo, 0x7f800000, |v3|
	v_div_fixup_f32 v24, v1, v0, 1.0
	s_delay_alu instid0(VALU_DEP_1) | instskip(NEXT) | instid1(VALU_DEP_1)
	v_dual_fmac_f32 v6, 0x3f317217, v3 :: v_dual_mul_f32 v1, v24, v4
	v_dual_add_f32 v69, v0, v24 :: v_dual_cndmask_b32 v3, v3, v6, vcc_lo
	s_delay_alu instid0(VALU_DEP_1) | instskip(NEXT) | instid1(VALU_DEP_1)
	v_sub_f32_e32 v29, v3, v2
	v_fma_f32 v76, v24, v1, v29
	s_branch .LBB1_226
.LBB1_223:                              ;   in Loop: Header=BB1_226 Depth=2
	s_or_b32 exec_lo, exec_lo, s0
	s_delay_alu instid0(VALU_DEP_1) | instskip(SKIP_2) | instid1(VALU_DEP_2)
	v_mul_f32_e32 v33, v24, v0
	v_fma_f32 v0, -v24, v0, 1.0
	s_and_not1_b32 s0, s2, exec_lo
	v_mul_f32_e32 v1, v23, v33
	s_delay_alu instid0(VALU_DEP_1) | instskip(NEXT) | instid1(VALU_DEP_1)
	v_div_scale_f32 v2, null, v1, v1, v0
	v_rcp_f32_e32 v3, v2
	v_nop
	s_delay_alu instid0(TRANS32_DEP_1) | instskip(NEXT) | instid1(VALU_DEP_1)
	v_fma_f32 v4, -v2, v3, 1.0
	v_fmac_f32_e32 v3, v4, v3
	v_div_scale_f32 v5, vcc_lo, v0, v1, v0
	s_delay_alu instid0(VALU_DEP_1) | instskip(SKIP_1) | instid1(VALU_DEP_2)
	v_mul_f32_e32 v4, v5, v3
	v_fma_f32 v32, v33, v33, 1.0
	v_fma_f32 v6, -v2, v4, v5
	s_delay_alu instid0(VALU_DEP_1) | instskip(NEXT) | instid1(VALU_DEP_1)
	v_fmac_f32_e32 v4, v6, v3
	v_fma_f32 v2, -v2, v4, v5
	s_delay_alu instid0(VALU_DEP_1) | instskip(NEXT) | instid1(VALU_DEP_1)
	v_div_fmas_f32 v2, v2, v3, v4
	v_div_fixup_f32 v77, v2, v1, v0
	s_delay_alu instid0(VALU_DEP_1) | instskip(NEXT) | instid1(VALU_DEP_1)
	v_sub_f32_e32 v0, 2.0, v77
	v_mul_f32_e32 v0, v77, v0
	s_delay_alu instid0(VALU_DEP_1) | instskip(SKIP_1) | instid1(VALU_DEP_1)
	v_max_num_f32_e32 v35, 0, v0
	s_wait_dscnt 0x0
	v_pk_mul_f32 v[0:1], v[34:35], v[32:33]
	s_delay_alu instid0(VALU_DEP_1) | instskip(NEXT) | instid1(VALU_DEP_1)
	v_sub_f32_e32 v1, v32, v1
	v_cmp_lt_f32_e32 vcc_lo, v0, v1
	s_and_b32 s2, vcc_lo, exec_lo
	s_delay_alu instid0(SALU_CYCLE_1)
	s_or_b32 s2, s0, s2
.LBB1_224:                              ;   in Loop: Header=BB1_226 Depth=2
	s_or_b32 exec_lo, exec_lo, s3
	s_delay_alu instid0(VALU_DEP_1) | instid1(SALU_CYCLE_1)
	s_or_not1_b32 s102, s2, exec_lo
.LBB1_225:                              ;   in Loop: Header=BB1_226 Depth=2
	s_or_b32 exec_lo, exec_lo, s1
	v_cndmask_b32_e64 v0, 0, 1, s102
	s_delay_alu instid0(VALU_DEP_1)
	v_cmp_ne_u32_e32 vcc_lo, 0, v0
	s_cmp_lg_u32 vcc_lo, exec_lo
	s_cbranch_scc0 .LBB1_256
.LBB1_226:                              ;   Parent Loop BB1_19 Depth=1
                                        ; =>  This Inner Loop Header: Depth=2
	flat_load_u8 v0, v[42:43] scope:SCOPE_SYS
	s_wait_loadcnt_dscnt 0x0
	v_cmp_lt_u32_e32 vcc_lo, 1, v0
	v_add_nc_u32_e32 v0, 1, v0
	s_wait_xcnt 0x0
	s_and_saveexec_b32 s103, vcc_lo
	s_cbranch_execz .LBB1_228
; %bb.227:                              ;   in Loop: Header=BB1_226 Depth=2
	s_swap_pc_i64 s[30:31], s[52:53]
	v_mov_b32_e32 v0, 0
.LBB1_228:                              ;   in Loop: Header=BB1_226 Depth=2
	s_or_b32 exec_lo, exec_lo, s103
	s_and_saveexec_b32 s0, s5
	s_cbranch_execz .LBB1_230
; %bb.229:                              ;   in Loop: Header=BB1_226 Depth=2
	flat_store_b8 v[42:43], v0 scope:SCOPE_SYS
	s_wait_storecnt 0x0
.LBB1_230:                              ;   in Loop: Header=BB1_226 Depth=2
	s_wait_xcnt 0x0
	s_or_b32 exec_lo, exec_lo, s0
	v_lshl_add_u32 v0, v0, 7, v75
	ds_load_b32 v78, v0
	flat_load_u8 v0, v[42:43] scope:SCOPE_SYS
	s_wait_loadcnt_dscnt 0x0
	v_cmp_lt_u32_e32 vcc_lo, 1, v0
	v_add_nc_u32_e32 v0, 1, v0
	s_wait_xcnt 0x0
	s_and_saveexec_b32 s103, vcc_lo
	s_cbranch_execz .LBB1_232
; %bb.231:                              ;   in Loop: Header=BB1_226 Depth=2
	s_swap_pc_i64 s[30:31], s[52:53]
	v_mov_b32_e32 v0, 0
.LBB1_232:                              ;   in Loop: Header=BB1_226 Depth=2
	s_or_b32 exec_lo, exec_lo, s103
	s_and_saveexec_b32 s0, s5
	s_cbranch_execz .LBB1_234
; %bb.233:                              ;   in Loop: Header=BB1_226 Depth=2
	flat_store_b8 v[42:43], v0 scope:SCOPE_SYS
	s_wait_storecnt 0x0
.LBB1_234:                              ;   in Loop: Header=BB1_226 Depth=2
	s_wait_xcnt 0x0
	s_or_b32 exec_lo, exec_lo, s0
	v_lshl_add_u32 v0, v0, 7, v75
	ds_load_b32 v32, v0
	flat_load_u8 v0, v[42:43] scope:SCOPE_SYS
	s_wait_loadcnt_dscnt 0x0
	v_cmp_lt_u32_e32 vcc_lo, 1, v0
	v_add_nc_u32_e32 v0, 1, v0
	s_wait_xcnt 0x0
	s_and_saveexec_b32 s103, vcc_lo
	s_cbranch_execz .LBB1_236
; %bb.235:                              ;   in Loop: Header=BB1_226 Depth=2
	s_swap_pc_i64 s[30:31], s[52:53]
	v_mov_b32_e32 v0, 0
.LBB1_236:                              ;   in Loop: Header=BB1_226 Depth=2
	s_or_b32 exec_lo, exec_lo, s103
	s_and_saveexec_b32 s0, s5
	s_cbranch_execz .LBB1_238
; %bb.237:                              ;   in Loop: Header=BB1_226 Depth=2
	flat_store_b8 v[42:43], v0 scope:SCOPE_SYS
	s_wait_storecnt 0x0
.LBB1_238:                              ;   in Loop: Header=BB1_226 Depth=2
	s_wait_xcnt 0x0
	s_or_b32 exec_lo, exec_lo, s0
	s_xor_b32 s0, s102, -1
	s_mov_b32 s102, -1
	s_and_saveexec_b32 s1, s0
	s_cbranch_execz .LBB1_225
; %bb.239:                              ;   in Loop: Header=BB1_226 Depth=2
                                        ; implicit-def: $sgpr2
                                        ; implicit-def: $vgpr35
                                        ; implicit-def: $vgpr77
                                        ; implicit-def: $vgpr33
	s_and_saveexec_b32 s0, s7
	s_delay_alu instid0(SALU_CYCLE_1)
	s_xor_b32 s0, exec_lo, s0
	s_cbranch_execz .LBB1_241
; %bb.240:                              ;   in Loop: Header=BB1_226 Depth=2
	v_sub_f32_e32 v0, 1.0, v24
	s_delay_alu instid0(VALU_DEP_1) | instskip(NEXT) | instid1(VALU_DEP_1)
	v_fma_f32 v33, v0, v78, v24
                                        ; implicit-def: $vgpr78
	v_dual_sub_f32 v0, 1.0, v33 :: v_dual_mul_f32 v1, v23, v33
	s_delay_alu instid0(VALU_DEP_1) | instskip(NEXT) | instid1(VALU_DEP_1)
	v_div_scale_f32 v2, null, v1, v1, v0
	v_rcp_f32_e32 v3, v2
	v_nop
	s_delay_alu instid0(TRANS32_DEP_1) | instskip(NEXT) | instid1(VALU_DEP_1)
	v_fma_f32 v4, -v2, v3, 1.0
	v_fmac_f32_e32 v3, v4, v3
	v_div_scale_f32 v5, vcc_lo, v0, v1, v0
	s_delay_alu instid0(VALU_DEP_1) | instskip(NEXT) | instid1(VALU_DEP_1)
	v_mul_f32_e32 v4, v5, v3
	v_fma_f32 v6, -v2, v4, v5
	s_delay_alu instid0(VALU_DEP_1) | instskip(NEXT) | instid1(VALU_DEP_1)
	v_fmac_f32_e32 v4, v6, v3
	v_fma_f32 v2, -v2, v4, v5
	s_delay_alu instid0(VALU_DEP_1) | instskip(NEXT) | instid1(VALU_DEP_1)
	v_div_fmas_f32 v2, v2, v3, v4
	v_div_fixup_f32 v77, v2, v1, v0
	v_fma_f32 v1, v33, v33, 1.0
	s_delay_alu instid0(VALU_DEP_2) | instskip(NEXT) | instid1(VALU_DEP_1)
	v_sub_f32_e32 v0, 2.0, v77
	v_mul_f32_e32 v0, v77, v0
	s_delay_alu instid0(VALU_DEP_1) | instskip(SKIP_1) | instid1(VALU_DEP_1)
	v_max_num_f32_e32 v35, 0, v0
	v_mul_f32_e32 v0, v33, v32
                                        ; implicit-def: $vgpr32
	v_mul_f32_e32 v0, v69, v0
	s_delay_alu instid0(VALU_DEP_3) | instskip(NEXT) | instid1(VALU_DEP_1)
	v_fma_f32 v1, -v33, v35, v1
	v_cmp_lt_f32_e64 s2, v0, v1
                                        ; implicit-def: $vgpr0
.LBB1_241:                              ;   in Loop: Header=BB1_226 Depth=2
	s_and_not1_saveexec_b32 s3, s0
	s_cbranch_execz .LBB1_224
; %bb.242:                              ;   in Loop: Header=BB1_226 Depth=2
	v_lshl_add_u32 v0, v0, 7, v75
	ds_load_b32 v34, v0
	v_mul_f32_e32 v0, v76, v78
	s_delay_alu instid0(VALU_DEP_1) | instskip(SKIP_1) | instid1(SALU_CYCLE_1)
	v_cmp_nlt_f32_e32 vcc_lo, v0, v29
                                        ; implicit-def: $vgpr0
	s_and_saveexec_b32 s0, vcc_lo
	s_xor_b32 s4, exec_lo, s0
	s_cbranch_execz .LBB1_244
; %bb.243:                              ;   in Loop: Header=BB1_226 Depth=2
	v_fma_f32 v0, v66, v32, 1.0
	s_delay_alu instid0(VALU_DEP_1) | instskip(NEXT) | instid1(VALU_DEP_1)
	v_sub_f32_e32 v0, v0, v32
                                        ; implicit-def: $vgpr32
	v_cmp_gt_f32_e32 vcc_lo, 0xf800000, v0
	v_mul_f32_e32 v1, 0x4f800000, v0
	s_delay_alu instid0(VALU_DEP_1) | instskip(NEXT) | instid1(VALU_DEP_1)
	v_cndmask_b32_e32 v0, v0, v1, vcc_lo
	v_sqrt_f32_e32 v1, v0
	v_nop
	s_delay_alu instid0(TRANS32_DEP_1) | instskip(NEXT) | instid1(VALU_DEP_1)
	v_add_nc_u32_e32 v2, -1, v1
	v_fma_f32 v3, -v2, v1, v0
	s_delay_alu instid0(VALU_DEP_1) | instskip(NEXT) | instid1(VALU_DEP_1)
	v_cmp_ge_f32_e64 s0, 0, v3
	v_dual_add_nc_u32 v3, 1, v1 :: v_dual_cndmask_b32 v2, v1, v2, s0
	s_delay_alu instid0(VALU_DEP_1) | instskip(NEXT) | instid1(VALU_DEP_1)
	v_fma_f32 v1, -v3, v1, v0
	v_cmp_lt_f32_e64 s0, 0, v1
	s_delay_alu instid0(VALU_DEP_1) | instskip(NEXT) | instid1(VALU_DEP_1)
	v_cndmask_b32_e64 v1, v2, v3, s0
	v_mul_f32_e32 v2, 0x37800000, v1
	s_delay_alu instid0(VALU_DEP_1) | instskip(SKIP_1) | instid1(VALU_DEP_2)
	v_cndmask_b32_e32 v1, v1, v2, vcc_lo
	v_cmp_class_f32_e64 vcc_lo, v0, 0x260
	v_cndmask_b32_e32 v0, v1, v0, vcc_lo
.LBB1_244:                              ;   in Loop: Header=BB1_226 Depth=2
	s_and_not1_saveexec_b32 s0, s4
	s_cbranch_execz .LBB1_223
; %bb.245:                              ;   in Loop: Header=BB1_226 Depth=2
	v_mul_f32_e32 v0, v29, v32
	s_delay_alu instid0(VALU_DEP_1) | instskip(SKIP_1) | instid1(VALU_DEP_2)
	v_mul_f32_e32 v1, 0x3fb8aa3b, v0
	v_cmp_ngt_f32_e32 vcc_lo, 0xc2ce8ed0, v0
	v_fma_f32 v2, 0x3fb8aa3b, v0, -v1
	v_rndne_f32_e32 v3, v1
	s_delay_alu instid0(VALU_DEP_1) | instskip(NEXT) | instid1(VALU_DEP_1)
	v_dual_fmac_f32 v2, 0x32a5705f, v0 :: v_dual_sub_f32 v1, v1, v3
	v_add_f32_e32 v1, v1, v2
	v_cvt_i32_f32_e32 v2, v3
	s_delay_alu instid0(VALU_DEP_2) | instskip(SKIP_1) | instid1(TRANS32_DEP_1)
	v_exp_f32_e32 v1, v1
	v_nop
	v_ldexp_f32 v1, v1, v2
	s_delay_alu instid0(VALU_DEP_1) | instskip(SKIP_1) | instid1(VALU_DEP_2)
	v_cndmask_b32_e32 v1, 0, v1, vcc_lo
	v_cmp_nlt_f32_e32 vcc_lo, 0x42b17218, v0
	v_cndmask_b32_e32 v0, 0x7f800000, v1, vcc_lo
	s_branch .LBB1_223
.LBB1_246:                              ;   in Loop: Header=BB1_19 Depth=1
	v_cndmask_b32_e64 v4, 0, 1, s7
	s_branch .LBB1_253
.LBB1_247:                              ;   in Loop: Header=BB1_19 Depth=1
	s_swap_pc_i64 s[30:31], s[52:53]
	v_mov_b32_e32 v0, 0
	s_or_b32 exec_lo, exec_lo, s101
	s_and_saveexec_b32 s0, s5
	s_cbranch_execz .LBB1_191
.LBB1_248:                              ;   in Loop: Header=BB1_19 Depth=1
	flat_store_b8 v[42:43], v0 scope:SCOPE_SYS
	s_wait_storecnt 0x0
	s_wait_xcnt 0x0
	s_or_b32 exec_lo, exec_lo, s0
	v_mov_b32_e32 v3, 0
	s_and_saveexec_b32 s1, s7
	s_cbranch_execz .LBB1_192
.LBB1_249:                              ;   in Loop: Header=BB1_19 Depth=1
	v_mul_f32_e32 v1, s88, v23
	v_lshl_add_u32 v0, v0, 7, v75
	s_mov_b32 s0, exec_lo
	s_delay_alu instid0(VALU_DEP_2) | instskip(SKIP_3) | instid1(VALU_DEP_1)
	v_cvt_i32_f32_e32 v2, v1
	ds_load_b32 v0, v0
	global_load_b32 v1, v2, s[26:27] scale_offset
	v_cvt_f32_i32_e32 v3, v2
	v_fma_f32 v4, v23, s88, -v3
	v_ashrrev_i32_e32 v3, 31, v2
	s_wait_loadcnt 0x0
	s_delay_alu instid0(VALU_DEP_2)
	v_cmpx_gt_f32_e32 v4, v1
	s_cbranch_execz .LBB1_251
; %bb.250:                              ;   in Loop: Header=BB1_19 Depth=1
	s_delay_alu instid0(VALU_DEP_2)
	v_lshl_add_u64 v[2:3], v[2:3], 2, s[60:61]
	global_load_b32 v2, v[2:3], off
	s_wait_loadcnt 0x0
	v_ashrrev_i32_e32 v3, 31, v2
.LBB1_251:                              ;   in Loop: Header=BB1_19 Depth=1
	s_or_b32 exec_lo, exec_lo, s0
	s_delay_alu instid0(VALU_DEP_1)
	v_lshl_add_u64 v[2:3], v[2:3], 2, s[24:25]
	v_mov_b64_e32 v[6:7], s[44:45]
	v_mov_b64_e32 v[52:53], s[16:17]
	v_dual_mov_b32 v36, 0 :: v_dual_mov_b32 v79, 0
	global_load_b64 v[4:5], v[2:3], off
	s_wait_xcnt 0x0
	v_mov_b64_e32 v[2:3], s[74:75]
	v_dual_mov_b32 v67, 2 :: v_dual_mov_b32 v74, 0
	v_dual_mov_b32 v25, s18 :: v_dual_mov_b32 v22, v36
	s_delay_alu instid0(VALU_DEP_3) | instskip(NEXT) | instid1(VALU_DEP_1)
	v_pk_fma_f32 v[2:3], v[32:33], v[6:7], v[2:3]
	v_pk_add_f32 v[6:7], v[2:3], v[52:53] neg_lo:[0,1] neg_hi:[0,1]
	s_delay_alu instid0(VALU_DEP_1) | instskip(NEXT) | instid1(VALU_DEP_1)
	v_pk_mul_f32 v[2:3], v[6:7], v[6:7]
	v_add_f32_e32 v1, v2, v3
	s_delay_alu instid0(VALU_DEP_1) | instskip(NEXT) | instid1(VALU_DEP_1)
	v_add_f32_e32 v1, s89, v1
	v_div_scale_f32 v2, null, v1, v1, 1.0
	v_div_scale_f32 v9, vcc_lo, 1.0, v1, 1.0
	s_delay_alu instid0(VALU_DEP_2) | instskip(SKIP_1) | instid1(TRANS32_DEP_1)
	v_rcp_f32_e32 v3, v2
	v_nop
	v_fma_f32 v8, -v2, v3, 1.0
	s_delay_alu instid0(VALU_DEP_1) | instskip(NEXT) | instid1(VALU_DEP_1)
	v_fmac_f32_e32 v3, v8, v3
	v_mul_f32_e32 v8, v9, v3
	s_delay_alu instid0(VALU_DEP_1) | instskip(NEXT) | instid1(VALU_DEP_1)
	v_fma_f32 v10, -v2, v8, v9
	v_fmac_f32_e32 v8, v10, v3
	s_delay_alu instid0(VALU_DEP_1) | instskip(NEXT) | instid1(VALU_DEP_1)
	v_fma_f32 v2, -v2, v8, v9
	v_div_fmas_f32 v2, v2, v3, v8
	s_delay_alu instid0(VALU_DEP_1) | instskip(NEXT) | instid1(VALU_DEP_1)
	v_div_fixup_f32 v3, v2, v1, 1.0
	v_mul_f32_e32 v1, 0x4f800000, v3
	v_cmp_gt_f32_e32 vcc_lo, 0xf800000, v3
	s_delay_alu instid0(VALU_DEP_2) | instskip(NEXT) | instid1(VALU_DEP_1)
	v_cndmask_b32_e32 v1, v3, v1, vcc_lo
	v_sqrt_f32_e32 v2, v1
	v_nop
	s_delay_alu instid0(TRANS32_DEP_1) | instskip(NEXT) | instid1(VALU_DEP_1)
	v_dual_add_nc_u32 v8, -1, v2 :: v_dual_add_nc_u32 v9, 1, v2
	v_fma_f32 v10, -v8, v2, v1
	s_delay_alu instid0(VALU_DEP_1) | instskip(NEXT) | instid1(VALU_DEP_1)
	v_cmp_ge_f32_e64 s0, 0, v10
	v_dual_fma_f32 v11, -v9, v2, v1 :: v_dual_cndmask_b32 v2, v2, v8, s0
	s_delay_alu instid0(VALU_DEP_1) | instskip(NEXT) | instid1(VALU_DEP_1)
	v_cmp_lt_f32_e64 s0, 0, v11
	v_cndmask_b32_e64 v2, v2, v9, s0
	s_delay_alu instid0(VALU_DEP_1) | instskip(NEXT) | instid1(VALU_DEP_1)
	v_mul_f32_e32 v8, 0x37800000, v2
	v_cndmask_b32_e32 v2, v2, v8, vcc_lo
	v_cmp_class_f32_e64 vcc_lo, v1, 0x260
	s_delay_alu instid0(VALU_DEP_2) | instskip(SKIP_1) | instid1(VALU_DEP_1)
	v_dual_cndmask_b32 v8, v2, v1 :: v_dual_mov_b32 v1, s46
	s_wait_loadcnt 0x0
	v_dual_mov_b32 v2, v5 :: v_dual_mul_f32 v68, s19, v8
	s_delay_alu instid0(VALU_DEP_1) | instskip(NEXT) | instid1(VALU_DEP_2)
	v_pk_add_f32 v[10:11], v[2:3], v[4:5] neg_lo:[0,1] neg_hi:[0,1]
	v_and_b32_e32 v9, 0x7fffffff, v68
	s_delay_alu instid0(VALU_DEP_1) | instskip(SKIP_2) | instid1(VALU_DEP_2)
	v_dual_mov_b32 v2, v4 :: v_dual_mov_b32 v11, v9
	v_pk_mul_f32 v[26:27], v[6:7], v[8:9] op_sel_hi:[1,0]
	s_wait_dscnt 0x0
	v_pk_mul_f32 v[12:13], v[0:1], v[10:11]
	v_pk_fma_f32 v[70:71], v[0:1], v[10:11], v[4:5]
	s_delay_alu instid0(VALU_DEP_2) | instskip(NEXT) | instid1(VALU_DEP_1)
	v_pk_mul_f32 v[2:3], v[2:3], v[12:13]
	v_mov_b32_e32 v71, v3
	s_or_b32 exec_lo, exec_lo, s1
	flat_store_b32 v[60:61], v3 scope:SCOPE_SYS
	s_wait_storecnt 0x0
	s_wait_xcnt 0x0
	s_and_saveexec_b32 s0, s5
	s_cbranch_execnz .LBB1_193
	s_branch .LBB1_194
.LBB1_252:                              ;   in Loop: Header=BB1_19 Depth=1
	v_cndmask_b32_e64 v4, 0, 1, s0
.LBB1_253:                              ;   in Loop: Header=BB1_19 Depth=1
	v_mov_b32_e32 v24, v68
	s_mov_b32 s0, -1
.LBB1_254:                              ;   in Loop: Header=BB1_19 Depth=1
	s_delay_alu instid0(SALU_CYCLE_1)
	s_and_b32 vcc_lo, exec_lo, s0
	s_mov_b32 s0, -1
	s_cbranch_vccz .LBB1_18
; %bb.255:                              ;   in Loop: Header=BB1_19 Depth=1
	s_add_co_i32 s39, s39, 1
	v_mov_b32_e32 v68, v24
	s_cmp_eq_u32 s39, 0x8000
	s_mov_b32 s100, 0
	s_cselect_b32 s0, -1, 0
	s_branch .LBB1_18
.LBB1_256:                              ;   in Loop: Header=BB1_19 Depth=1
	flat_load_u8 v0, v[42:43] scope:SCOPE_SYS
	s_wait_loadcnt_dscnt 0x0
	v_cmp_lt_u32_e32 vcc_lo, 1, v0
	v_add_nc_u32_e32 v0, 1, v0
	s_wait_xcnt 0x0
	s_and_saveexec_b32 s7, vcc_lo
	s_cbranch_execnz .LBB1_259
; %bb.257:                              ;   in Loop: Header=BB1_19 Depth=1
	s_or_b32 exec_lo, exec_lo, s7
	s_and_saveexec_b32 s0, s5
	s_cbranch_execnz .LBB1_260
.LBB1_258:                              ;   in Loop: Header=BB1_19 Depth=1
	s_or_b32 exec_lo, exec_lo, s0
	s_and_saveexec_b32 s1, s6
	s_cbranch_execnz .LBB1_261
	s_branch .LBB1_266
.LBB1_259:                              ;   in Loop: Header=BB1_19 Depth=1
	s_swap_pc_i64 s[30:31], s[52:53]
	v_mov_b32_e32 v0, 0
	s_or_b32 exec_lo, exec_lo, s7
	s_and_saveexec_b32 s0, s5
	s_cbranch_execz .LBB1_258
.LBB1_260:                              ;   in Loop: Header=BB1_19 Depth=1
	flat_store_b8 v[42:43], v0 scope:SCOPE_SYS
	s_wait_storecnt 0x0
	s_wait_xcnt 0x0
	s_or_b32 exec_lo, exec_lo, s0
	s_and_saveexec_b32 s1, s6
	s_cbranch_execz .LBB1_266
.LBB1_261:                              ;   in Loop: Header=BB1_19 Depth=1
	v_cmp_gt_f32_e32 vcc_lo, 0xf800000, v35
	v_mul_f32_e32 v1, 0x4f800000, v35
	v_lshl_add_u32 v0, v0, 7, v75
	s_delay_alu instid0(VALU_DEP_2) | instskip(SKIP_3) | instid1(TRANS32_DEP_1)
	v_cndmask_b32_e32 v3, v35, v1, vcc_lo
	ds_load_b32 v0, v0
	v_sqrt_f32_e32 v1, v3
	v_nop
	v_dual_add_nc_u32 v2, -1, v1 :: v_dual_add_nc_u32 v4, 1, v1
	s_delay_alu instid0(VALU_DEP_1) | instskip(SKIP_2) | instid1(VALU_DEP_2)
	v_fma_f32 v5, -v2, v1, v3
	s_wait_dscnt 0x0
	v_mul_f32_e32 v0, 0x40c90fdb, v0
	v_cmp_ge_f32_e64 s0, 0, v5
	s_delay_alu instid0(VALU_DEP_2) | instskip(NEXT) | instid1(VALU_DEP_2)
	v_dual_fma_f32 v6, -v4, v1, v3 :: v_dual_mul_f32 v5, 0.15915494, v0
	v_cndmask_b32_e64 v1, v1, v2, s0
	s_delay_alu instid0(VALU_DEP_2) | instskip(NEXT) | instid1(VALU_DEP_3)
	v_cmp_lt_f32_e64 s0, 0, v6
	v_sin_f32_e32 v6, v5
	v_cos_f32_e32 v5, v5
	s_delay_alu instid0(VALU_DEP_1) | instskip(SKIP_2) | instid1(VALU_DEP_2)
	v_cndmask_b32_e64 v2, v1, v4, s0
	v_pk_mul_f32 v[0:1], v[26:27], v[26:27]
	s_mov_b32 s0, exec_lo
	v_mul_f32_e32 v4, 0x37800000, v2
	s_delay_alu instid0(VALU_DEP_1) | instskip(SKIP_2) | instid1(VALU_DEP_3)
	v_cndmask_b32_e32 v4, v2, v4, vcc_lo
	v_cmp_class_f32_e64 vcc_lo, v3, 0x260
	v_dual_add_f32 v2, v1, v0 :: v_dual_sub_f32 v0, 1.0, v77
	v_cndmask_b32_e32 v1, v4, v3, vcc_lo
	s_delay_alu instid0(VALU_DEP_1) | instskip(NEXT) | instid1(VALU_DEP_3)
	v_mul_f32_e32 v3, v1, v6
	v_cmpx_ngt_f32_e32 0x1e3ce508, v2
	s_xor_b32 s2, exec_lo, s0
	s_cbranch_execz .LBB1_263
; %bb.262:                              ;   in Loop: Header=BB1_19 Depth=1
	v_cmp_gt_f32_e32 vcc_lo, 0xf800000, v2
	v_dual_mul_f32 v4, 0x4f800000, v2 :: v_dual_mov_b32 v69, v3
	s_delay_alu instid0(VALU_DEP_1) | instskip(NEXT) | instid1(VALU_DEP_1)
	v_cndmask_b32_e32 v2, v2, v4, vcc_lo
	v_sqrt_f32_e32 v4, v2
	v_nop
	s_delay_alu instid0(TRANS32_DEP_1) | instskip(NEXT) | instid1(VALU_DEP_1)
	v_add_nc_u32_e32 v6, -1, v4
	v_fma_f32 v7, -v6, v4, v2
	s_delay_alu instid0(VALU_DEP_1) | instskip(NEXT) | instid1(VALU_DEP_1)
	v_cmp_ge_f32_e64 s0, 0, v7
	v_dual_add_nc_u32 v7, 1, v4 :: v_dual_cndmask_b32 v6, v4, v6, s0
	s_delay_alu instid0(VALU_DEP_1) | instskip(NEXT) | instid1(VALU_DEP_1)
	v_fma_f32 v4, -v7, v4, v2
	v_cmp_lt_f32_e64 s0, 0, v4
	s_delay_alu instid0(VALU_DEP_1) | instskip(NEXT) | instid1(VALU_DEP_1)
	v_cndmask_b32_e64 v4, v6, v7, s0
	v_mul_f32_e32 v6, 0x37800000, v4
	s_delay_alu instid0(VALU_DEP_1) | instskip(SKIP_1) | instid1(VALU_DEP_2)
	v_cndmask_b32_e32 v4, v4, v6, vcc_lo
	v_cmp_class_f32_e64 vcc_lo, v2, 0x260
	v_cndmask_b32_e32 v13, v4, v2, vcc_lo
	s_delay_alu instid0(VALU_DEP_1) | instskip(NEXT) | instid1(VALU_DEP_1)
	v_div_scale_f32 v2, null, v13, v13, v27
	v_rcp_f32_e32 v4, v2
	v_nop
	s_delay_alu instid0(TRANS32_DEP_1) | instskip(NEXT) | instid1(VALU_DEP_1)
	v_fma_f32 v6, -v2, v4, 1.0
	v_fmac_f32_e32 v4, v6, v4
	v_div_scale_f32 v6, vcc_lo, v27, v13, v27
	s_delay_alu instid0(VALU_DEP_1) | instskip(NEXT) | instid1(VALU_DEP_1)
	v_mul_f32_e32 v7, v6, v4
	v_fma_f32 v8, -v2, v7, v6
	s_delay_alu instid0(VALU_DEP_1) | instskip(NEXT) | instid1(VALU_DEP_1)
	v_fmac_f32_e32 v7, v8, v4
	v_fma_f32 v2, -v2, v7, v6
	s_delay_alu instid0(VALU_DEP_1) | instskip(NEXT) | instid1(VALU_DEP_1)
	v_div_fmas_f32 v2, v2, v4, v7
	v_div_fixup_f32 v7, v2, v13, v27
	v_div_scale_f32 v2, null, v13, v13, v26
	s_delay_alu instid0(VALU_DEP_1) | instskip(SKIP_1) | instid1(TRANS32_DEP_1)
	v_rcp_f32_e32 v4, v2
	v_nop
	v_fma_f32 v6, -v2, v4, 1.0
	s_delay_alu instid0(VALU_DEP_1) | instskip(SKIP_1) | instid1(VALU_DEP_1)
	v_fmac_f32_e32 v4, v6, v4
	v_div_scale_f32 v6, vcc_lo, v26, v13, v26
	v_mul_f32_e32 v8, v6, v4
	s_delay_alu instid0(VALU_DEP_1) | instskip(NEXT) | instid1(VALU_DEP_1)
	v_fma_f32 v9, -v2, v8, v6
	v_fmac_f32_e32 v8, v9, v4
	s_delay_alu instid0(VALU_DEP_1) | instskip(NEXT) | instid1(VALU_DEP_1)
	v_fma_f32 v2, -v2, v8, v6
	v_div_fmas_f32 v2, v2, v4, v8
	v_mov_b32_e32 v4, v7
	s_delay_alu instid0(VALU_DEP_2) | instskip(SKIP_1) | instid1(VALU_DEP_2)
	v_div_fixup_f32 v6, v2, v13, v26
	v_mul_f32_e32 v2, v26, v0
	v_pk_mul_f32 v[8:9], v[68:69], v[6:7]
	v_dual_mov_b32 v69, v1 :: v_dual_mov_b32 v1, v3
	s_delay_alu instid0(VALU_DEP_2) | instskip(NEXT) | instid1(VALU_DEP_2)
	v_dual_mul_f32 v3, v27, v0 :: v_dual_mov_b32 v12, v9
	v_pk_mul_f32 v[4:5], v[68:69], v[4:5]
	s_delay_alu instid0(VALU_DEP_1) | instskip(NEXT) | instid1(VALU_DEP_2)
	v_dual_mov_b32 v69, v13 :: v_dual_mov_b32 v10, v5
	v_mul_f32_e32 v4, v4, v5
	s_delay_alu instid0(VALU_DEP_2) | instskip(SKIP_1) | instid1(VALU_DEP_1)
	v_pk_fma_f32 v[8:9], v[8:9], v[10:11], v[12:13] neg_lo:[0,0,1] neg_hi:[0,0,1]
	v_dual_mov_b32 v10, v27 :: v_dual_mov_b32 v11, v6
	v_pk_fma_f32 v[6:7], v[10:11], v[0:1], v[4:5] op_sel_hi:[1,1,0]
	v_mov_b32_e32 v1, v5
                                        ; implicit-def: $vgpr5
	s_delay_alu instid0(VALU_DEP_2) | instskip(NEXT) | instid1(VALU_DEP_2)
	v_mov_b32_e32 v9, v7
	v_pk_mul_f32 v[0:1], v[68:69], v[0:1]
	s_delay_alu instid0(VALU_DEP_2) | instskip(NEXT) | instid1(VALU_DEP_2)
	v_pk_add_f32 v[26:27], v[2:3], v[8:9]
	v_sub_f32_e32 v68, v0, v1
                                        ; implicit-def: $vgpr1
                                        ; implicit-def: $vgpr0
                                        ; implicit-def: $vgpr3
.LBB1_263:                              ;   in Loop: Header=BB1_19 Depth=1
	s_and_not1_saveexec_b32 s0, s2
; %bb.264:                              ;   in Loop: Header=BB1_19 Depth=1
	s_delay_alu instid0(VALU_DEP_1) | instskip(NEXT) | instid1(VALU_DEP_1)
	v_dual_mul_f32 v2, v1, v5 :: v_dual_mul_f32 v68, v68, v0
	v_mov_b64_e32 v[26:27], v[2:3]
; %bb.265:                              ;   in Loop: Header=BB1_19 Depth=1
	s_or_b32 exec_lo, exec_lo, s0
.LBB1_266:                              ;   in Loop: Header=BB1_19 Depth=1
	s_delay_alu instid0(SALU_CYCLE_1) | instskip(SKIP_1) | instid1(VALU_DEP_1)
	s_or_b32 exec_lo, exec_lo, s1
	v_cndmask_b32_e64 v0, 0, 1, s6
	v_cmp_ne_u32_e32 vcc_lo, 0, v0
	s_and_saveexec_b32 s0, s5
	s_cbranch_execz .LBB1_268
; %bb.267:                              ;   in Loop: Header=BB1_19 Depth=1
	scratch_load_b64 v[2:3], off, off offset:32 ; 8-byte Folded Reload
	s_bcnt1_i32_b32 s1, vcc_lo
	s_wait_loadcnt 0x0
	flat_load_b32 v1, v[2:3] scope:SCOPE_SYS
	s_wait_loadcnt_dscnt 0x0
	v_add_nc_u32_e32 v1, s1, v1
	flat_store_b32 v[2:3], v1 scope:SCOPE_SYS
	s_wait_storecnt 0x0
	flat_load_b32 v1, v[58:59] scope:SCOPE_SYS
	s_wait_loadcnt_dscnt 0x0
	v_add_nc_u32_e32 v1, 1, v1
	flat_store_b32 v[58:59], v1 scope:SCOPE_SYS
	s_wait_storecnt 0x0
.LBB1_268:                              ;   in Loop: Header=BB1_19 Depth=1
	s_wait_xcnt 0x0
	s_or_b32 exec_lo, exec_lo, s0
	v_mul_f32_e32 v1, v70, v33
	v_cndmask_b32_e64 v67, v67, 2, s6
	v_add_nc_u32_e32 v22, v22, v0
	s_delay_alu instid0(VALU_DEP_3)
	v_cndmask_b32_e64 v70, v70, v1, s6
.LBB1_269:                              ;   in Loop: Header=BB1_19 Depth=1
	s_or_b32 s1, s101, s6
	s_delay_alu instid0(SALU_CYCLE_1) | instskip(NEXT) | instid1(VALU_DEP_1)
	v_cndmask_b32_e64 v0, 0, 1, s1
	v_cmp_ne_u32_e32 vcc_lo, 0, v0
	s_cmp_eq_u32 vcc_lo, exec_lo
	s_cbranch_scc1 .LBB1_304
; %bb.270:                              ;   in Loop: Header=BB1_19 Depth=1
	v_and_b32_e32 v0, 0xff, v67
	s_delay_alu instid0(VALU_DEP_1)
	v_cmp_eq_u16_e32 vcc_lo, 5, v0
	s_cbranch_vccz .LBB1_274
; %bb.271:                              ;   in Loop: Header=BB1_19 Depth=1
	v_cndmask_b32_e64 v0, 0, 1, vcc_lo
	s_delay_alu instid0(VALU_DEP_1)
	v_cmp_ne_u32_e64 s0, 0, v0
	s_and_saveexec_b32 s2, s5
	s_cbranch_execz .LBB1_273
; %bb.272:                              ;   in Loop: Header=BB1_19 Depth=1
	scratch_load_b64 v[2:3], off, off offset:64 ; 8-byte Folded Reload
	s_bcnt1_i32_b32 s0, s0
	s_wait_loadcnt 0x0
	flat_load_b32 v0, v[2:3] scope:SCOPE_SYS
	s_wait_loadcnt_dscnt 0x0
	v_add_nc_u32_e32 v0, s0, v0
	flat_store_b32 v[2:3], v0 scope:SCOPE_SYS
	s_wait_storecnt 0x0
	flat_load_b32 v0, v[58:59] scope:SCOPE_SYS
	s_wait_loadcnt_dscnt 0x0
	v_add_nc_u32_e32 v0, 1, v0
	flat_store_b32 v[58:59], v0 scope:SCOPE_SYS
	s_wait_storecnt 0x0
.LBB1_273:                              ;   in Loop: Header=BB1_19 Depth=1
	s_wait_xcnt 0x0
	s_or_b32 exec_lo, exec_lo, s2
	v_cndmask_b32_e64 v67, v67, 8, vcc_lo
.LBB1_274:                              ;   in Loop: Header=BB1_19 Depth=1
	s_or_b32 s7, s1, vcc_lo
	s_delay_alu instid0(SALU_CYCLE_1) | instskip(NEXT) | instid1(VALU_DEP_1)
	v_cndmask_b32_e64 v0, 0, 1, s7
	v_cmp_ne_u32_e64 s0, 0, v0
	s_cmp_eq_u32 s0, exec_lo
	s_cbranch_scc1 .LBB1_378
; %bb.275:                              ;   in Loop: Header=BB1_19 Depth=1
	v_and_b32_e32 v0, 0xff, v67
	s_delay_alu instid0(VALU_DEP_1)
	v_cmp_eq_u16_e64 s6, 3, v0
	v_cmp_ne_u16_e64 s0, 3, v0
	s_mov_b32 vcc_lo, s6
	s_cbranch_vccz .LBB1_367
; %bb.276:                              ;   in Loop: Header=BB1_19 Depth=1
                                        ; implicit-def: $vgpr0
	s_and_saveexec_b32 s1, s6
	s_cbranch_execz .LBB1_278
; %bb.277:                              ;   in Loop: Header=BB1_19 Depth=1
	v_lshl_add_u64 v[0:1], v[36:37], 4, s[56:57]
	v_dual_mov_b32 v67, 2 :: v_dual_add_nc_u32 v22, 0x10000, v22
	global_load_u16 v0, v[0:1], off
.LBB1_278:                              ;   in Loop: Header=BB1_19 Depth=1
	s_wait_xcnt 0x0
	s_or_b32 exec_lo, exec_lo, s1
	s_wait_loadcnt 0x0
	v_and_b32_e32 v0, 0xffff, v0
	s_and_saveexec_b32 s1, s0
	s_delay_alu instid0(SALU_CYCLE_1) | instskip(NEXT) | instid1(SALU_CYCLE_1)
	s_xor_b32 s0, exec_lo, s1
	s_or_saveexec_b32 s0, s0
	v_dual_mov_b32 v23, 0 :: v_dual_mov_b32 v32, 0
	v_mov_b32_e32 v24, 0
	s_xor_b32 exec_lo, exec_lo, s0
	s_cbranch_execz .LBB1_280
; %bb.279:                              ;   in Loop: Header=BB1_19 Depth=1
	global_load_b64 v[2:3], v0, s[58:59] scale_offset
	v_cmp_gt_f32_e32 vcc_lo, 0x800000, v70
	v_mul_f32_e32 v24, 0x42a14f65, v70
	v_cndmask_b32_e64 v1, 0, 32, vcc_lo
	v_cndmask_b32_e64 v5, 0, 0x41b17218, vcc_lo
	s_delay_alu instid0(VALU_DEP_2) | instskip(NEXT) | instid1(VALU_DEP_1)
	v_ldexp_f32 v1, v70, v1
	v_log_f32_e32 v1, v1
	v_nop
	s_delay_alu instid0(TRANS32_DEP_1) | instskip(SKIP_1) | instid1(VALU_DEP_2)
	v_mul_f32_e32 v4, 0x3f317217, v1
	v_cmp_gt_f32_e64 vcc_lo, 0x7f800000, |v1|
	v_fma_f32 v4, 0x3f317217, v1, -v4
	s_delay_alu instid0(VALU_DEP_1) | instskip(NEXT) | instid1(VALU_DEP_1)
	v_fmac_f32_e32 v4, 0x3377d1cf, v1
	v_fmac_f32_e32 v4, 0x3f317217, v1
	s_delay_alu instid0(VALU_DEP_1) | instskip(NEXT) | instid1(VALU_DEP_1)
	v_cndmask_b32_e32 v1, v1, v4, vcc_lo
	v_sub_f32_e32 v1, v1, v5
	s_wait_loadcnt 0x0
	s_delay_alu instid0(VALU_DEP_1) | instskip(NEXT) | instid1(VALU_DEP_1)
	v_fmac_f32_e32 v2, v1, v3
	v_cvt_i32_f32_e32 v2, v2
	s_delay_alu instid0(VALU_DEP_1)
	v_mad_u32_u24 v2, 0xc8, v0, v2
	global_load_b64 v[32:33], v2, s[76:77] scale_offset
	s_wait_loadcnt 0x0
	v_fmac_f32_e32 v32, v1, v33
.LBB1_280:                              ;   in Loop: Header=BB1_19 Depth=1
	s_wait_xcnt 0x0
	s_or_b32 exec_lo, exec_lo, s0
	v_mul_u32_u24_e32 v29, 0x64, v0
	v_dual_mov_b32 v28, 0 :: v_dual_mov_b32 v33, 0
	s_xor_b32 s102, s6, -1
	s_branch .LBB1_283
.LBB1_281:                              ;   in Loop: Header=BB1_283 Depth=2
	s_or_b32 exec_lo, exec_lo, s2
	v_mul_f32_e32 v23, v28, v28
	s_or_not1_b32 s102, s1, exec_lo
.LBB1_282:                              ;   in Loop: Header=BB1_283 Depth=2
	s_or_b32 exec_lo, exec_lo, s0
	v_cndmask_b32_e64 v0, 0, 1, s102
	s_delay_alu instid0(VALU_DEP_1)
	v_cmp_ne_u32_e32 vcc_lo, 0, v0
	s_cmp_lg_u32 vcc_lo, exec_lo
	s_cbranch_scc0 .LBB1_305
.LBB1_283:                              ;   Parent Loop BB1_19 Depth=1
                                        ; =>  This Loop Header: Depth=2
                                        ;       Child Loop BB1_286 Depth 3
                                        ;         Child Loop BB1_295 Depth 4
	s_xor_b32 s101, s102, -1
	s_branch .LBB1_286
.LBB1_284:                              ;   in Loop: Header=BB1_286 Depth=3
	s_or_b32 exec_lo, exec_lo, s2
	s_delay_alu instid0(VALU_DEP_1) | instskip(SKIP_3) | instid1(VALU_DEP_1)
	v_lshl_add_u64 v[0:1], v[0:1], 4, s[64:65]
	global_load_b128 v[0:3], v[0:1], off
	s_wait_loadcnt 0x0
	v_sub_f32_e32 v1, v4, v1
	v_fma_f32 v1, v1, v3, 1.0
	s_delay_alu instid0(VALU_DEP_1) | instskip(SKIP_2) | instid1(VALU_DEP_2)
	v_cmp_gt_f32_e32 vcc_lo, 0x800000, v1
	v_cndmask_b32_e64 v3, 0, 32, vcc_lo
	v_cndmask_b32_e64 v4, 0, 0x41b17218, vcc_lo
	v_ldexp_f32 v1, v1, v3
	s_delay_alu instid0(VALU_DEP_1) | instskip(SKIP_1) | instid1(TRANS32_DEP_1)
	v_log_f32_e32 v1, v1
	v_nop
	v_mul_f32_e32 v3, 0x3f317217, v1
	v_cmp_gt_f32_e64 vcc_lo, 0x7f800000, |v1|
	s_delay_alu instid0(VALU_DEP_2) | instskip(NEXT) | instid1(VALU_DEP_1)
	v_fma_f32 v3, 0x3f317217, v1, -v3
	v_fmac_f32_e32 v3, 0x3377d1cf, v1
	s_delay_alu instid0(VALU_DEP_1) | instskip(NEXT) | instid1(VALU_DEP_1)
	v_fmac_f32_e32 v3, 0x3f317217, v1
	v_cndmask_b32_e32 v1, v1, v3, vcc_lo
	s_delay_alu instid0(VALU_DEP_1) | instskip(NEXT) | instid1(VALU_DEP_1)
	v_sub_f32_e32 v1, v1, v4
	v_mul_f32_e32 v1, v2, v1
	s_delay_alu instid0(VALU_DEP_1) | instskip(SKIP_1) | instid1(VALU_DEP_2)
	v_mul_f32_e32 v2, 0x3fb8aa3b, v1
	v_cmp_ngt_f32_e32 vcc_lo, 0xc2ce8ed0, v1
	v_fma_f32 v3, 0x3fb8aa3b, v1, -v2
	v_rndne_f32_e32 v4, v2
	s_delay_alu instid0(VALU_DEP_1) | instskip(NEXT) | instid1(VALU_DEP_1)
	v_dual_fmac_f32 v3, 0x32a5705f, v1 :: v_dual_sub_f32 v2, v2, v4
	v_add_f32_e32 v2, v2, v3
	v_cvt_i32_f32_e32 v3, v4
	s_delay_alu instid0(VALU_DEP_2) | instskip(SKIP_1) | instid1(TRANS32_DEP_1)
	v_exp_f32_e32 v2, v2
	v_nop
	v_ldexp_f32 v2, v2, v3
	s_delay_alu instid0(VALU_DEP_1) | instskip(SKIP_1) | instid1(VALU_DEP_2)
	v_cndmask_b32_e32 v2, 0, v2, vcc_lo
	v_cmp_nlt_f32_e32 vcc_lo, 0x42b17218, v1
	v_cndmask_b32_e32 v1, 0x7f800000, v2, vcc_lo
	s_delay_alu instid0(VALU_DEP_1) | instskip(NEXT) | instid1(VALU_DEP_1)
	v_mul_f32_e32 v33, v0, v1
	v_cmp_lt_f32_e32 vcc_lo, v33, v24
	s_or_not1_b32 s102, vcc_lo, exec_lo
.LBB1_285:                              ;   in Loop: Header=BB1_286 Depth=3
	s_or_b32 exec_lo, exec_lo, s1
	v_cndmask_b32_e64 v0, 0, 1, s102
	s_delay_alu instid0(VALU_DEP_1)
	v_cmp_ne_u32_e32 vcc_lo, 0, v0
	s_cmp_lg_u32 vcc_lo, exec_lo
	s_cbranch_scc0 .LBB1_297
.LBB1_286:                              ;   Parent Loop BB1_19 Depth=1
                                        ;     Parent Loop BB1_283 Depth=2
                                        ; =>    This Loop Header: Depth=3
                                        ;         Child Loop BB1_295 Depth 4
	flat_load_u8 v0, v[42:43] scope:SCOPE_SYS
	s_wait_loadcnt_dscnt 0x0
	v_cmp_lt_u32_e32 vcc_lo, 1, v0
	v_add_nc_u32_e32 v0, 1, v0
	s_wait_xcnt 0x0
	s_and_saveexec_b32 s103, vcc_lo
	s_cbranch_execz .LBB1_288
; %bb.287:                              ;   in Loop: Header=BB1_286 Depth=3
	s_swap_pc_i64 s[30:31], s[52:53]
	v_mov_b32_e32 v0, 0
.LBB1_288:                              ;   in Loop: Header=BB1_286 Depth=3
	s_or_b32 exec_lo, exec_lo, s103
	s_and_saveexec_b32 s0, s5
	s_cbranch_execz .LBB1_290
; %bb.289:                              ;   in Loop: Header=BB1_286 Depth=3
	flat_store_b8 v[42:43], v0 scope:SCOPE_SYS
	s_wait_storecnt 0x0
.LBB1_290:                              ;   in Loop: Header=BB1_286 Depth=3
	s_wait_xcnt 0x0
	s_or_b32 exec_lo, exec_lo, s0
	s_xor_b32 s0, s102, -1
	s_mov_b32 s102, -1
	s_and_saveexec_b32 s1, s0
	s_cbranch_execz .LBB1_285
; %bb.291:                              ;   in Loop: Header=BB1_286 Depth=3
	v_lshl_add_u32 v0, v0, 7, v75
	ds_load_b32 v0, v0
	s_wait_dscnt 0x0
	v_mul_f32_e32 v4, v32, v0
	s_delay_alu instid0(VALU_DEP_1) | instskip(NEXT) | instid1(VALU_DEP_1)
	v_mul_f32_e32 v0, 0x42c60000, v4
	v_cvt_i32_f32_e32 v0, v0
	s_delay_alu instid0(VALU_DEP_1) | instskip(NEXT) | instid1(VALU_DEP_1)
	v_add_nc_u32_e32 v0, v29, v0
	v_ashrrev_i32_e32 v1, 31, v0
	s_delay_alu instid0(VALU_DEP_1) | instskip(SKIP_3) | instid1(VALU_DEP_1)
	v_lshl_add_u64 v[0:1], v[0:1], 2, s[78:79]
	global_load_b64 v[0:1], v[0:1], off
	s_wait_loadcnt 0x0
	v_dual_add_nc_u32 v5, -1, v0 :: v_dual_add_nc_u32 v0, -1, v1
	v_cmp_le_i32_e32 vcc_lo, v0, v5
                                        ; implicit-def: $vgpr0_vgpr1
	s_and_saveexec_b32 s0, vcc_lo
	s_delay_alu instid0(SALU_CYCLE_1)
	s_xor_b32 s0, exec_lo, s0
; %bb.292:                              ;   in Loop: Header=BB1_286 Depth=3
	v_add_nc_u32_e32 v0, v5, v29
                                        ; implicit-def: $vgpr5
	s_delay_alu instid0(VALU_DEP_1)
	v_ashrrev_i32_e32 v1, 31, v0
; %bb.293:                              ;   in Loop: Header=BB1_286 Depth=3
	s_and_not1_saveexec_b32 s2, s0
	s_cbranch_execz .LBB1_284
; %bb.294:                              ;   in Loop: Header=BB1_286 Depth=3
	v_add_nc_u32_e32 v2, v29, v5
	s_mov_b32 s3, 0
	s_delay_alu instid0(VALU_DEP_1) | instskip(NEXT) | instid1(VALU_DEP_1)
	v_ashrrev_i32_e32 v3, 31, v2
	v_add_nc_u64_e32 v[0:1], -1, v[2:3]
	v_lshl_add_u64 v[2:3], v[2:3], 4, s[80:81]
.LBB1_295:                              ;   Parent Loop BB1_19 Depth=1
                                        ;     Parent Loop BB1_283 Depth=2
                                        ;       Parent Loop BB1_286 Depth=3
                                        ; =>      This Inner Loop Header: Depth=4
	global_load_b32 v6, v[2:3], off
	v_cmp_lt_i32_e32 vcc_lo, 0x61, v5
	v_add_nc_u64_e32 v[0:1], 1, v[0:1]
	s_wait_xcnt 0x0
	v_add_nc_u64_e32 v[2:3], 16, v[2:3]
	v_add_nc_u32_e32 v5, 1, v5
	s_wait_loadcnt 0x0
	v_cmp_lt_f32_e64 s0, v4, v6
	s_or_b32 s0, vcc_lo, s0
	s_delay_alu instid0(SALU_CYCLE_1) | instskip(NEXT) | instid1(SALU_CYCLE_1)
	s_and_b32 s0, exec_lo, s0
	s_or_b32 s3, s0, s3
	s_delay_alu instid0(SALU_CYCLE_1)
	s_and_not1_b32 exec_lo, exec_lo, s3
	s_cbranch_execnz .LBB1_295
; %bb.296:                              ;   in Loop: Header=BB1_286 Depth=3
	s_or_b32 exec_lo, exec_lo, s3
	s_branch .LBB1_284
.LBB1_297:                              ;   in Loop: Header=BB1_283 Depth=2
	flat_load_u8 v0, v[42:43] scope:SCOPE_SYS
	s_wait_loadcnt_dscnt 0x0
	v_cmp_lt_u32_e32 vcc_lo, 1, v0
	v_add_nc_u32_e32 v0, 1, v0
	s_wait_xcnt 0x0
	s_and_saveexec_b32 s102, vcc_lo
	s_cbranch_execnz .LBB1_300
; %bb.298:                              ;   in Loop: Header=BB1_283 Depth=2
	s_or_b32 exec_lo, exec_lo, s102
	s_and_saveexec_b32 s0, s5
	s_cbranch_execnz .LBB1_301
.LBB1_299:                              ;   in Loop: Header=BB1_283 Depth=2
	s_or_b32 exec_lo, exec_lo, s0
	s_mov_b32 s102, -1
	s_and_saveexec_b32 s0, s101
	s_cbranch_execz .LBB1_282
	s_branch .LBB1_302
.LBB1_300:                              ;   in Loop: Header=BB1_283 Depth=2
	s_swap_pc_i64 s[30:31], s[52:53]
	v_mov_b32_e32 v0, 0
	s_or_b32 exec_lo, exec_lo, s102
	s_and_saveexec_b32 s0, s5
	s_cbranch_execz .LBB1_299
.LBB1_301:                              ;   in Loop: Header=BB1_283 Depth=2
	flat_store_b8 v[42:43], v0 scope:SCOPE_SYS
	s_wait_storecnt 0x0
	s_wait_xcnt 0x0
	s_or_b32 exec_lo, exec_lo, s0
	s_mov_b32 s102, -1
	s_and_saveexec_b32 s0, s101
	s_cbranch_execz .LBB1_282
.LBB1_302:                              ;   in Loop: Header=BB1_283 Depth=2
	v_div_scale_f32 v1, null, v70, v70, v33
	v_lshl_add_u32 v0, v0, 7, v75
	s_mov_b32 s1, 0
	s_mov_b32 s2, exec_lo
	s_delay_alu instid0(VALU_DEP_2) | instskip(SKIP_3) | instid1(VALU_DEP_1)
	v_rcp_f32_e32 v2, v1
	ds_load_b32 v0, v0
	v_nop
	v_fma_f32 v3, -v1, v2, 1.0
	v_fmac_f32_e32 v2, v3, v2
	v_div_scale_f32 v3, vcc_lo, v33, v70, v33
	s_wait_dscnt 0x0
	s_delay_alu instid0(VALU_DEP_1) | instskip(NEXT) | instid1(VALU_DEP_1)
	v_dual_mul_f32 v4, v3, v2 :: v_dual_add_f32 v0, v0, v0
	v_fma_f32 v5, -v1, v4, v3
	s_delay_alu instid0(VALU_DEP_1) | instskip(NEXT) | instid1(VALU_DEP_1)
	v_fmac_f32_e32 v4, v5, v2
	v_fma_f32 v1, -v1, v4, v3
	s_delay_alu instid0(VALU_DEP_1) | instskip(NEXT) | instid1(VALU_DEP_1)
	v_div_fmas_f32 v1, v1, v2, v4
	v_div_fixup_f32 v33, v1, v70, v33
	s_delay_alu instid0(VALU_DEP_1) | instskip(NEXT) | instid1(VALU_DEP_1)
	v_mul_f32_e32 v1, 0xb9a1307f, v33
	v_fma_f32 v28, v33, v1, 1.0
	s_delay_alu instid0(VALU_DEP_1) | instskip(NEXT) | instid1(VALU_DEP_1)
	v_fma_f32 v1, v28, v28, 1.0
	v_cmpx_lt_f32_e32 v0, v1
	s_cbranch_execz .LBB1_281
; %bb.303:                              ;   in Loop: Header=BB1_283 Depth=2
	s_mov_b32 s1, exec_lo
	s_branch .LBB1_281
.LBB1_304:                              ;   in Loop: Header=BB1_19 Depth=1
	v_cndmask_b32_e64 v4, 0, 1, s6
	s_mov_b32 s0, -1
	v_mov_b32_e32 v24, v68
	s_branch .LBB1_254
.LBB1_305:                              ;   in Loop: Header=BB1_19 Depth=1
	flat_load_u8 v0, v[42:43] scope:SCOPE_SYS
	s_wait_loadcnt_dscnt 0x0
	v_cmp_lt_u32_e32 vcc_lo, 1, v0
	v_add_nc_u32_e32 v0, 1, v0
	s_wait_xcnt 0x0
	s_and_saveexec_b32 s101, vcc_lo
	s_cbranch_execnz .LBB1_357
; %bb.306:                              ;   in Loop: Header=BB1_19 Depth=1
	s_or_b32 exec_lo, exec_lo, s101
	s_and_saveexec_b32 s0, s5
	s_cbranch_execnz .LBB1_358
.LBB1_307:                              ;   in Loop: Header=BB1_19 Depth=1
	s_or_b32 exec_lo, exec_lo, s0
	s_and_saveexec_b32 s1, s6
	s_cbranch_execnz .LBB1_359
	s_branch .LBB1_364
.LBB1_308:                              ;   in Loop: Header=BB1_19 Depth=1
	s_mov_b32 s3, exec_lo
	v_cmpx_lt_i32_e32 0xffff, v22
	s_xor_b32 s3, exec_lo, s3
	s_cbranch_execz .LBB1_312
; %bb.309:                              ;   in Loop: Header=BB1_19 Depth=1
	s_mov_b32 s2, -1
	s_mov_b32 s4, exec_lo
	v_cmpx_eq_u32_e32 0x10000, v22
; %bb.310:                              ;   in Loop: Header=BB1_19 Depth=1
	s_xor_b32 s2, exec_lo, -1
; %bb.311:                              ;   in Loop: Header=BB1_19 Depth=1
	s_or_b32 exec_lo, exec_lo, s4
	s_delay_alu instid0(SALU_CYCLE_1)
	s_and_b32 s2, s2, exec_lo
.LBB1_312:                              ;   in Loop: Header=BB1_19 Depth=1
	s_or_saveexec_b32 s3, s3
	v_mov_b64_e32 v[0:1], 2
	s_xor_b32 exec_lo, exec_lo, s3
	s_cbranch_execz .LBB1_316
; %bb.313:                              ;   in Loop: Header=BB1_19 Depth=1
	s_mov_b32 s4, -1
	s_mov_b32 s101, exec_lo
	v_cmpx_eq_u32_e32 1, v22
; %bb.314:                              ;   in Loop: Header=BB1_19 Depth=1
	s_xor_b32 s4, exec_lo, -1
; %bb.315:                              ;   in Loop: Header=BB1_19 Depth=1
	s_or_b32 exec_lo, exec_lo, s101
	v_mov_b64_e32 v[0:1], 1
	s_and_not1_b32 s2, s2, exec_lo
	s_and_b32 s4, s4, exec_lo
	s_delay_alu instid0(SALU_CYCLE_1)
	s_or_b32 s2, s2, s4
.LBB1_316:                              ;   in Loop: Header=BB1_19 Depth=1
	s_or_b32 exec_lo, exec_lo, s3
	s_delay_alu instid0(SALU_CYCLE_1)
	s_and_b32 s2, s2, exec_lo
	s_and_not1_saveexec_b32 s1, s1
	s_cbranch_execz .LBB1_208
.LBB1_317:                              ;   in Loop: Header=BB1_19 Depth=1
	v_mov_b32_e32 v23, v37
	v_cmp_ne_u32_e32 vcc_lo, 0, v22
	s_and_not1_b32 s2, s2, exec_lo
	s_delay_alu instid0(VALU_DEP_2) | instskip(SKIP_1) | instid1(SALU_CYCLE_1)
	v_mov_b64_e32 v[0:1], v[22:23]
	s_and_b32 s3, vcc_lo, exec_lo
	s_or_b32 s2, s2, s3
	s_or_b32 exec_lo, exec_lo, s1
	s_and_saveexec_b32 s1, s2
	s_cbranch_execnz .LBB1_209
	s_branch .LBB1_210
.LBB1_318:                              ;   in Loop: Header=BB1_19 Depth=1
	s_mov_b32 s3, 0
                                        ; implicit-def: $vgpr2
                                        ; implicit-def: $vgpr4
	s_mov_b32 s1, exec_lo
	v_cmpx_lt_i32_e32 2, v3
	s_xor_b32 s102, exec_lo, s1
	s_cbranch_execz .LBB1_333
; %bb.319:                              ;   in Loop: Header=BB1_19 Depth=1
	v_mul_f32_e32 v3, 0x3e800000, v71
	v_cmp_lt_i32_e32 vcc_lo, -1, v5
	s_delay_alu instid0(VALU_DEP_2)
	v_mul_f32_e32 v2, v3, v70
	s_and_saveexec_b32 s4, vcc_lo
	s_cbranch_execz .LBB1_322
; %bb.320:                              ;   in Loop: Header=BB1_19 Depth=1
	v_cmp_gt_i32_e64 s1, s22, v5
	v_cmp_lt_i32_e64 s2, -1, v6
	v_cmp_gt_i32_e64 s3, s23, v6
	s_and_b32 s1, s1, s2
	s_delay_alu instid0(SALU_CYCLE_1) | instskip(NEXT) | instid1(SALU_CYCLE_1)
	s_and_b32 s1, s1, s3
	s_and_b32 exec_lo, exec_lo, s1
	s_cbranch_execz .LBB1_322
; %bb.321:                              ;   in Loop: Header=BB1_19 Depth=1
	v_lshlrev_b64_e32 v[8:9], 3, v[0:1]
	v_mad_u32 v12, s22, v6, v5
	v_mov_b32_e32 v13, v37
	s_delay_alu instid0(VALU_DEP_3) | instskip(SKIP_1) | instid1(VALU_DEP_3)
	v_add_nc_u64_e32 v[10:11], s[34:35], v[8:9]
	v_add_nc_u64_e32 v[8:9], s[48:49], v[8:9]
	v_lshlrev_b64_e32 v[12:13], 2, v[12:13]
	global_load_b64 v[10:11], v[10:11], off
	s_wait_loadcnt 0x0
	v_add_nc_u64_e32 v[10:11], v[10:11], v[12:13]
	global_atomic_add_f32 v[10:11], v3, off scope:SCOPE_DEV
	global_load_b64 v[8:9], v[8:9], off
	s_wait_loadcnt 0x0
	v_add_nc_u64_e32 v[8:9], v[8:9], v[12:13]
	global_atomic_add_f32 v[8:9], v2, off scope:SCOPE_DEV
.LBB1_322:                              ;   in Loop: Header=BB1_19 Depth=1
	s_wait_xcnt 0x0
	s_or_b32 exec_lo, exec_lo, s4
	v_add_nc_u32_e32 v7, -1, v5
	v_cmp_lt_i32_e64 s1, 0, v5
	s_and_saveexec_b32 s103, s1
	s_cbranch_execz .LBB1_325
; %bb.323:                              ;   in Loop: Header=BB1_19 Depth=1
	v_cmp_lt_i32_e64 s2, -1, v6
	v_cmp_gt_i32_e64 s3, s23, v6
	v_cmp_ge_i32_e64 s4, s22, v5
	s_and_b32 s2, s2, s3
	s_delay_alu instid0(SALU_CYCLE_1) | instskip(NEXT) | instid1(SALU_CYCLE_1)
	s_and_b32 s2, s2, s4
	s_and_b32 exec_lo, exec_lo, s2
	s_cbranch_execz .LBB1_325
; %bb.324:                              ;   in Loop: Header=BB1_19 Depth=1
	v_lshlrev_b64_e32 v[8:9], 3, v[0:1]
	v_mad_u32 v12, s22, v6, v7
	v_mov_b32_e32 v13, v37
	s_delay_alu instid0(VALU_DEP_3) | instskip(SKIP_1) | instid1(VALU_DEP_3)
	v_add_nc_u64_e32 v[10:11], s[34:35], v[8:9]
	v_add_nc_u64_e32 v[8:9], s[48:49], v[8:9]
	v_lshlrev_b64_e32 v[12:13], 2, v[12:13]
	global_load_b64 v[10:11], v[10:11], off
	s_wait_loadcnt 0x0
	v_add_nc_u64_e32 v[10:11], v[10:11], v[12:13]
	global_atomic_add_f32 v[10:11], v3, off scope:SCOPE_DEV
	global_load_b64 v[8:9], v[8:9], off
	s_wait_loadcnt 0x0
	v_add_nc_u64_e32 v[8:9], v[8:9], v[12:13]
	global_atomic_add_f32 v[8:9], v2, off scope:SCOPE_DEV
.LBB1_325:                              ;   in Loop: Header=BB1_19 Depth=1
	s_wait_xcnt 0x0
	s_or_b32 exec_lo, exec_lo, s103
	v_add_nc_u32_e32 v8, -1, v6
	s_and_saveexec_b32 s4, vcc_lo
	s_cbranch_execz .LBB1_328
; %bb.326:                              ;   in Loop: Header=BB1_19 Depth=1
	v_cmp_gt_i32_e32 vcc_lo, s22, v5
	v_cmp_lt_i32_e64 s2, 0, v6
	v_cmp_ge_i32_e64 s3, s23, v6
	s_and_b32 s2, vcc_lo, s2
	s_delay_alu instid0(SALU_CYCLE_1) | instskip(NEXT) | instid1(SALU_CYCLE_1)
	s_and_b32 s2, s2, s3
	s_and_b32 exec_lo, exec_lo, s2
	s_cbranch_execz .LBB1_328
; %bb.327:                              ;   in Loop: Header=BB1_19 Depth=1
	v_lshlrev_b64_e32 v[10:11], 3, v[0:1]
	v_mad_u32 v14, v8, s22, v5
	v_mov_b32_e32 v15, v37
	s_delay_alu instid0(VALU_DEP_3) | instskip(SKIP_1) | instid1(VALU_DEP_3)
	v_add_nc_u64_e32 v[12:13], s[34:35], v[10:11]
	v_add_nc_u64_e32 v[10:11], s[48:49], v[10:11]
	v_lshlrev_b64_e32 v[14:15], 2, v[14:15]
	global_load_b64 v[12:13], v[12:13], off
	s_wait_loadcnt 0x0
	v_add_nc_u64_e32 v[12:13], v[12:13], v[14:15]
	global_atomic_add_f32 v[12:13], v3, off scope:SCOPE_DEV
	global_load_b64 v[10:11], v[10:11], off
	s_wait_loadcnt 0x0
	v_add_nc_u64_e32 v[10:11], v[10:11], v[14:15]
	global_atomic_add_f32 v[10:11], v2, off scope:SCOPE_DEV
.LBB1_328:                              ;   in Loop: Header=BB1_19 Depth=1
	s_wait_xcnt 0x0
	s_or_b32 exec_lo, exec_lo, s4
	s_mov_b32 s2, 0
                                        ; implicit-def: $vgpr4
	s_and_saveexec_b32 s3, s1
	s_cbranch_execz .LBB1_332
; %bb.329:                              ;   in Loop: Header=BB1_19 Depth=1
	v_cmp_ge_i32_e32 vcc_lo, s22, v5
	v_cmp_ge_i32_e64 s1, s23, v6
	v_cmp_lt_i32_e64 s2, 0, v6
                                        ; implicit-def: $vgpr4
	s_and_b32 s1, vcc_lo, s1
	s_delay_alu instid0(SALU_CYCLE_1) | instskip(SKIP_2) | instid1(SALU_CYCLE_1)
	s_and_b32 s2, s1, s2
	s_mov_b32 s1, 0
	s_and_saveexec_b32 s4, s2
	s_xor_b32 s2, exec_lo, s4
; %bb.330:                              ;   in Loop: Header=BB1_19 Depth=1
	v_mad_u32 v4, v8, s22, v7
	s_mov_b32 s1, exec_lo
; %bb.331:                              ;   in Loop: Header=BB1_19 Depth=1
	s_or_b32 exec_lo, exec_lo, s2
	s_delay_alu instid0(SALU_CYCLE_1)
	s_and_b32 s2, s1, exec_lo
.LBB1_332:                              ;   in Loop: Header=BB1_19 Depth=1
	s_or_b32 exec_lo, exec_lo, s3
	v_mov_b64_e32 v[70:71], v[2:3]
	s_and_b32 s3, s2, exec_lo
                                        ; implicit-def: $vgpr5
                                        ; implicit-def: $vgpr6
.LBB1_333:                              ;   in Loop: Header=BB1_19 Depth=1
	s_and_not1_saveexec_b32 s4, s102
	s_cbranch_execz .LBB1_341
; %bb.334:                              ;   in Loop: Header=BB1_19 Depth=1
	s_delay_alu instid0(VALU_DEP_1) | instskip(SKIP_2) | instid1(VALU_DEP_1)
	v_mul_f32_e32 v3, 0.5, v71
	s_mov_b32 s1, s3
	s_mov_b32 s102, exec_lo
                                        ; implicit-def: $vgpr4
	v_mul_f32_e32 v2, v3, v70
	v_cmpx_lt_i32_e32 -1, v5
	s_cbranch_execz .LBB1_340
; %bb.335:                              ;   in Loop: Header=BB1_19 Depth=1
	v_cmp_gt_i32_e32 vcc_lo, s22, v5
	v_cmp_lt_i32_e64 s1, -1, v6
	v_cmp_gt_i32_e64 s2, s23, v6
	s_and_b32 s1, vcc_lo, s1
	s_delay_alu instid0(SALU_CYCLE_1) | instskip(NEXT) | instid1(SALU_CYCLE_1)
	s_and_b32 s2, s1, s2
	s_and_saveexec_b32 s1, s2
	s_cbranch_execz .LBB1_337
; %bb.336:                              ;   in Loop: Header=BB1_19 Depth=1
	v_lshlrev_b64_e32 v[8:9], 3, v[0:1]
	v_mad_u32 v12, s22, v6, v5
	v_mov_b32_e32 v13, v37
	s_delay_alu instid0(VALU_DEP_3) | instskip(SKIP_1) | instid1(VALU_DEP_3)
	v_add_nc_u64_e32 v[10:11], s[34:35], v[8:9]
	v_add_nc_u64_e32 v[8:9], s[48:49], v[8:9]
	v_lshlrev_b64_e32 v[12:13], 2, v[12:13]
	global_load_b64 v[10:11], v[10:11], off
	s_wait_loadcnt 0x0
	v_add_nc_u64_e32 v[10:11], v[10:11], v[12:13]
	global_atomic_add_f32 v[10:11], v3, off scope:SCOPE_DEV
	global_load_b64 v[8:9], v[8:9], off
	s_wait_loadcnt 0x0
	v_add_nc_u64_e32 v[8:9], v[8:9], v[12:13]
	global_atomic_add_f32 v[8:9], v2, off scope:SCOPE_DEV
.LBB1_337:                              ;   in Loop: Header=BB1_19 Depth=1
	s_wait_xcnt 0x0
	s_or_b32 exec_lo, exec_lo, s1
	v_cmp_lt_i32_e64 s1, 0, v6
	v_cmp_ge_i32_e64 s2, s23, v6
                                        ; implicit-def: $vgpr4
	s_and_b32 s1, vcc_lo, s1
	s_delay_alu instid0(SALU_CYCLE_1) | instskip(SKIP_2) | instid1(SALU_CYCLE_1)
	s_and_b32 s2, s1, s2
	s_mov_b32 s1, s3
	s_and_saveexec_b32 s103, s2
	s_xor_b32 s2, exec_lo, s103
; %bb.338:                              ;   in Loop: Header=BB1_19 Depth=1
	v_add_nc_u32_e32 v4, -1, v6
	s_or_b32 s1, s3, exec_lo
	s_delay_alu instid0(VALU_DEP_1)
	v_mad_u32 v4, v4, s22, v5
; %bb.339:                              ;   in Loop: Header=BB1_19 Depth=1
	s_or_b32 exec_lo, exec_lo, s2
	s_delay_alu instid0(SALU_CYCLE_1) | instskip(SKIP_1) | instid1(SALU_CYCLE_1)
	s_and_not1_b32 s2, s3, exec_lo
	s_and_b32 s1, s1, exec_lo
	s_or_b32 s1, s2, s1
.LBB1_340:                              ;   in Loop: Header=BB1_19 Depth=1
	s_or_b32 exec_lo, exec_lo, s102
	s_delay_alu instid0(VALU_DEP_2) | instskip(SKIP_2) | instid1(SALU_CYCLE_1)
	v_mov_b64_e32 v[70:71], v[2:3]
	s_and_not1_b32 s2, s3, exec_lo
	s_and_b32 s1, s1, exec_lo
	s_or_b32 s3, s2, s1
.LBB1_341:                              ;   in Loop: Header=BB1_19 Depth=1
	s_or_b32 exec_lo, exec_lo, s4
	s_delay_alu instid0(SALU_CYCLE_1)
	s_and_b32 s4, s3, exec_lo
                                        ; implicit-def: $vgpr3
                                        ; implicit-def: $vgpr5
                                        ; implicit-def: $vgpr6
	s_and_not1_saveexec_b32 s101, s101
	s_cbranch_execz .LBB1_212
.LBB1_342:                              ;   in Loop: Header=BB1_19 Depth=1
	s_mov_b32 s102, s4
                                        ; implicit-def: $vgpr2
                                        ; implicit-def: $vgpr4
	s_mov_b32 s1, exec_lo
	v_cmpx_ne_u32_e32 1, v3
	s_xor_b32 s3, exec_lo, s1
	s_cbranch_execz .LBB1_348
; %bb.343:                              ;   in Loop: Header=BB1_19 Depth=1
	s_mov_b32 s1, s4
	s_mov_b32 s102, exec_lo
                                        ; implicit-def: $vgpr2
                                        ; implicit-def: $vgpr4
	v_cmpx_lt_i32_e32 -1, v5
	s_cbranch_execz .LBB1_347
; %bb.344:                              ;   in Loop: Header=BB1_19 Depth=1
	v_cmp_gt_i32_e32 vcc_lo, s22, v5
	v_cmp_lt_i32_e64 s1, -1, v6
	v_cmp_gt_i32_e64 s2, s23, v6
                                        ; implicit-def: $vgpr2
                                        ; implicit-def: $vgpr4
	s_and_b32 s1, vcc_lo, s1
	s_delay_alu instid0(SALU_CYCLE_1)
	s_and_b32 s103, s1, s2
	s_mov_b32 s1, s4
	s_and_saveexec_b32 s2, s103
; %bb.345:                              ;   in Loop: Header=BB1_19 Depth=1
	v_mad_u32 v4, s22, v6, v5
	v_mul_f32_e32 v2, v71, v70
	s_or_b32 s1, s4, exec_lo
; %bb.346:                              ;   in Loop: Header=BB1_19 Depth=1
	s_or_b32 exec_lo, exec_lo, s2
	s_delay_alu instid0(SALU_CYCLE_1) | instskip(SKIP_1) | instid1(SALU_CYCLE_1)
	s_and_not1_b32 s2, s4, exec_lo
	s_and_b32 s1, s1, exec_lo
	s_or_b32 s1, s2, s1
.LBB1_347:                              ;   in Loop: Header=BB1_19 Depth=1
	s_or_b32 exec_lo, exec_lo, s102
	s_delay_alu instid0(SALU_CYCLE_1) | instskip(SKIP_1) | instid1(SALU_CYCLE_1)
	s_and_not1_b32 s2, s4, exec_lo
	s_and_b32 s1, s1, exec_lo
                                        ; implicit-def: $vgpr5
                                        ; implicit-def: $vgpr6
	s_or_b32 s102, s2, s1
.LBB1_348:                              ;   in Loop: Header=BB1_19 Depth=1
	s_and_not1_saveexec_b32 s103, s3
	s_cbranch_execz .LBB1_356
; %bb.349:                              ;   in Loop: Header=BB1_19 Depth=1
	v_cmp_gt_i32_e32 vcc_lo, s22, v5
	v_cmp_lt_i32_e64 s1, -1, v6
	v_mul_f32_e32 v3, 0.5, v71
	v_cmp_gt_i32_e64 s2, s23, v6
	v_cmp_lt_i32_e64 s3, -1, v5
	s_and_b32 s1, vcc_lo, s1
	v_mul_f32_e32 v2, v3, v70
	s_and_b32 s1, s1, s2
	s_delay_alu instid0(SALU_CYCLE_1) | instskip(NEXT) | instid1(SALU_CYCLE_1)
	s_and_b32 s2, s3, s1
	s_and_saveexec_b32 s1, s2
	s_cbranch_execz .LBB1_351
; %bb.350:                              ;   in Loop: Header=BB1_19 Depth=1
	v_lshlrev_b64_e32 v[8:9], 3, v[0:1]
	v_mad_u32 v12, s22, v6, v5
	v_mov_b32_e32 v13, v37
	s_delay_alu instid0(VALU_DEP_3) | instskip(SKIP_1) | instid1(VALU_DEP_3)
	v_add_nc_u64_e32 v[10:11], s[34:35], v[8:9]
	v_add_nc_u64_e32 v[8:9], s[48:49], v[8:9]
	v_lshlrev_b64_e32 v[12:13], 2, v[12:13]
	global_load_b64 v[10:11], v[10:11], off
	s_wait_loadcnt 0x0
	v_add_nc_u64_e32 v[10:11], v[10:11], v[12:13]
	global_atomic_add_f32 v[10:11], v3, off scope:SCOPE_DEV
	global_load_b64 v[8:9], v[8:9], off
	s_wait_loadcnt 0x0
	v_add_nc_u64_e32 v[8:9], v[8:9], v[12:13]
	global_atomic_add_f32 v[8:9], v2, off scope:SCOPE_DEV
.LBB1_351:                              ;   in Loop: Header=BB1_19 Depth=1
	s_wait_xcnt 0x0
	s_or_b32 exec_lo, exec_lo, s1
	s_mov_b32 s1, s102
	s_mov_b32 s3, exec_lo
                                        ; implicit-def: $vgpr4
	v_cmpx_lt_i32_e32 0, v5
	s_cbranch_execz .LBB1_355
; %bb.352:                              ;   in Loop: Header=BB1_19 Depth=1
	v_cmp_lt_i32_e32 vcc_lo, -1, v6
	v_cmp_gt_i32_e64 s1, s23, v6
	v_cmp_ge_i32_e64 s2, s22, v5
                                        ; implicit-def: $vgpr4
	s_and_b32 s1, vcc_lo, s1
	s_delay_alu instid0(SALU_CYCLE_1)
	s_and_b32 s104, s1, s2
	s_mov_b32 s1, s102
	s_and_saveexec_b32 s2, s104
; %bb.353:                              ;   in Loop: Header=BB1_19 Depth=1
	v_mul_lo_u32 v4, s22, v6
	s_or_b32 s1, s102, exec_lo
	s_delay_alu instid0(VALU_DEP_1)
	v_add3_u32 v4, v5, v4, -1
; %bb.354:                              ;   in Loop: Header=BB1_19 Depth=1
	s_or_b32 exec_lo, exec_lo, s2
	s_delay_alu instid0(SALU_CYCLE_1) | instskip(SKIP_1) | instid1(SALU_CYCLE_1)
	s_and_not1_b32 s2, s102, exec_lo
	s_and_b32 s1, s1, exec_lo
	s_or_b32 s1, s2, s1
.LBB1_355:                              ;   in Loop: Header=BB1_19 Depth=1
	s_or_b32 exec_lo, exec_lo, s3
	v_mov_b64_e32 v[70:71], v[2:3]
	s_and_not1_b32 s2, s102, exec_lo
	s_and_b32 s1, s1, exec_lo
	s_delay_alu instid0(SALU_CYCLE_1)
	s_or_b32 s102, s2, s1
.LBB1_356:                              ;   in Loop: Header=BB1_19 Depth=1
	s_or_b32 exec_lo, exec_lo, s103
	s_delay_alu instid0(SALU_CYCLE_1) | instskip(SKIP_1) | instid1(SALU_CYCLE_1)
	s_and_not1_b32 s1, s4, exec_lo
	s_and_b32 s2, s102, exec_lo
	s_or_b32 s4, s1, s2
	s_or_b32 exec_lo, exec_lo, s101
	s_and_saveexec_b32 s1, s4
	s_cbranch_execnz .LBB1_213
	s_branch .LBB1_214
.LBB1_357:                              ;   in Loop: Header=BB1_19 Depth=1
	s_swap_pc_i64 s[30:31], s[52:53]
	v_mov_b32_e32 v0, 0
	s_or_b32 exec_lo, exec_lo, s101
	s_and_saveexec_b32 s0, s5
	s_cbranch_execz .LBB1_307
.LBB1_358:                              ;   in Loop: Header=BB1_19 Depth=1
	flat_store_b8 v[42:43], v0 scope:SCOPE_SYS
	s_wait_storecnt 0x0
	s_wait_xcnt 0x0
	s_or_b32 exec_lo, exec_lo, s0
	s_and_saveexec_b32 s1, s6
	s_cbranch_execz .LBB1_364
.LBB1_359:                              ;   in Loop: Header=BB1_19 Depth=1
	v_lshl_add_u32 v0, v0, 7, v75
	ds_load_b32 v0, v0
	v_sub_f32_e32 v1, 1.0, v23
	s_delay_alu instid0(VALU_DEP_1) | instskip(SKIP_1) | instid1(VALU_DEP_2)
	v_mul_f32_e32 v2, 0x4f800000, v1
	v_cmp_gt_f32_e32 vcc_lo, 0xf800000, v1
	v_cndmask_b32_e32 v3, v1, v2, vcc_lo
	s_delay_alu instid0(VALU_DEP_1) | instskip(SKIP_1) | instid1(TRANS32_DEP_1)
	v_sqrt_f32_e32 v1, v3
	v_nop
	v_dual_add_nc_u32 v2, -1, v1 :: v_dual_add_nc_u32 v4, 1, v1
	s_delay_alu instid0(VALU_DEP_1) | instskip(NEXT) | instid1(VALU_DEP_1)
	v_fma_f32 v5, -v2, v1, v3
	v_cmp_ge_f32_e64 s0, 0, v5
	s_delay_alu instid0(VALU_DEP_1) | instskip(NEXT) | instid1(VALU_DEP_1)
	v_dual_fma_f32 v6, -v4, v1, v3 :: v_dual_cndmask_b32 v1, v1, v2, s0
	v_cmp_lt_f32_e64 s0, 0, v6
	s_delay_alu instid0(VALU_DEP_1) | instskip(SKIP_4) | instid1(VALU_DEP_2)
	v_cndmask_b32_e64 v2, v1, v4, s0
	s_wait_dscnt 0x0
	v_mul_f32_e32 v4, 0x40c90fdb, v0
	v_pk_mul_f32 v[0:1], v[26:27], v[26:27]
	s_mov_b32 s0, exec_lo
	v_dual_mul_f32 v4, 0.15915494, v4 :: v_dual_mul_f32 v5, 0x37800000, v2
	s_delay_alu instid0(VALU_DEP_1) | instskip(SKIP_2) | instid1(VALU_DEP_4)
	v_cndmask_b32_e32 v5, v2, v5, vcc_lo
	v_cmp_class_f32_e64 vcc_lo, v3, 0x260
	v_add_f32_e32 v2, v1, v0
	v_sin_f32_e32 v0, v4
	v_cos_f32_e32 v4, v4
	v_cndmask_b32_e32 v3, v5, v3, vcc_lo
	s_delay_alu instid0(TRANS32_DEP_2) | instid1(VALU_DEP_1)
	v_mul_f32_e32 v1, v3, v0
	s_delay_alu instid0(TRANS32_DEP_1)
	v_mul_f32_e32 v0, v3, v4
	v_cmpx_ngt_f32_e32 0x1e3ce508, v2
	s_xor_b32 s2, exec_lo, s0
	s_cbranch_execz .LBB1_361
; %bb.360:                              ;   in Loop: Header=BB1_19 Depth=1
	v_cmp_gt_f32_e32 vcc_lo, 0xf800000, v2
	v_mul_f32_e32 v3, 0x4f800000, v2
	s_delay_alu instid0(VALU_DEP_1) | instskip(NEXT) | instid1(VALU_DEP_1)
	v_cndmask_b32_e32 v2, v2, v3, vcc_lo
	v_sqrt_f32_e32 v3, v2
	v_nop
	s_delay_alu instid0(TRANS32_DEP_1) | instskip(NEXT) | instid1(VALU_DEP_1)
	v_add_nc_u32_e32 v4, -1, v3
	v_fma_f32 v5, -v4, v3, v2
	s_delay_alu instid0(VALU_DEP_1) | instskip(NEXT) | instid1(VALU_DEP_1)
	v_cmp_ge_f32_e64 s0, 0, v5
	v_dual_add_nc_u32 v5, 1, v3 :: v_dual_cndmask_b32 v4, v3, v4, s0
	s_delay_alu instid0(VALU_DEP_1) | instskip(NEXT) | instid1(VALU_DEP_1)
	v_fma_f32 v3, -v5, v3, v2
	v_cmp_lt_f32_e64 s0, 0, v3
	s_delay_alu instid0(VALU_DEP_1) | instskip(NEXT) | instid1(VALU_DEP_1)
	v_cndmask_b32_e64 v3, v4, v5, s0
	v_mul_f32_e32 v4, 0x37800000, v3
	s_delay_alu instid0(VALU_DEP_1) | instskip(SKIP_1) | instid1(VALU_DEP_2)
	v_cndmask_b32_e32 v3, v3, v4, vcc_lo
	v_cmp_class_f32_e64 vcc_lo, v2, 0x260
	v_cndmask_b32_e32 v69, v3, v2, vcc_lo
	s_delay_alu instid0(VALU_DEP_1) | instskip(NEXT) | instid1(VALU_DEP_1)
	v_div_scale_f32 v2, null, v69, v69, v27
	v_rcp_f32_e32 v3, v2
	v_nop
	s_delay_alu instid0(TRANS32_DEP_1) | instskip(NEXT) | instid1(VALU_DEP_1)
	v_fma_f32 v4, -v2, v3, 1.0
	v_fmac_f32_e32 v3, v4, v3
	v_div_scale_f32 v4, vcc_lo, v27, v69, v27
	s_delay_alu instid0(VALU_DEP_1) | instskip(NEXT) | instid1(VALU_DEP_1)
	v_mul_f32_e32 v5, v4, v3
	v_fma_f32 v6, -v2, v5, v4
	s_delay_alu instid0(VALU_DEP_1) | instskip(NEXT) | instid1(VALU_DEP_1)
	v_fmac_f32_e32 v5, v6, v3
	v_fma_f32 v2, -v2, v5, v4
	s_delay_alu instid0(VALU_DEP_1) | instskip(NEXT) | instid1(VALU_DEP_1)
	v_div_fmas_f32 v2, v2, v3, v5
	v_div_fixup_f32 v3, v2, v69, v27
	v_div_scale_f32 v2, null, v69, v69, v26
	s_delay_alu instid0(VALU_DEP_1) | instskip(SKIP_1) | instid1(TRANS32_DEP_1)
	v_rcp_f32_e32 v4, v2
	v_nop
	v_fma_f32 v5, -v2, v4, 1.0
	s_delay_alu instid0(VALU_DEP_1) | instskip(SKIP_1) | instid1(VALU_DEP_1)
	v_fmac_f32_e32 v4, v5, v4
	v_div_scale_f32 v5, vcc_lo, v26, v69, v26
	v_mul_f32_e32 v6, v5, v4
	s_delay_alu instid0(VALU_DEP_1) | instskip(NEXT) | instid1(VALU_DEP_1)
	v_fma_f32 v7, -v2, v6, v5
	v_fmac_f32_e32 v6, v7, v4
	s_delay_alu instid0(VALU_DEP_1) | instskip(NEXT) | instid1(VALU_DEP_1)
	v_fma_f32 v2, -v2, v6, v5
	v_div_fmas_f32 v2, v2, v4, v6
	v_mov_b32_e32 v6, v3
	s_delay_alu instid0(VALU_DEP_2) | instskip(NEXT) | instid1(VALU_DEP_1)
	v_div_fixup_f32 v2, v2, v69, v26
	v_pk_mul_f32 v[4:5], v[68:69], v[2:3] op_sel_hi:[0,1]
	v_dual_mov_b32 v7, v2 :: v_dual_mov_b32 v2, v1
	s_delay_alu instid0(VALU_DEP_1) | instskip(NEXT) | instid1(VALU_DEP_1)
	v_pk_mul_f32 v[2:3], v[6:7], v[2:3] op_sel_hi:[1,0]
	v_pk_fma_f32 v[6:7], v[4:5], v[0:1], v[2:3] neg_lo:[0,0,1] neg_hi:[0,0,1]
	v_pk_fma_f32 v[2:3], v[4:5], v[0:1], v[2:3] op_sel_hi:[1,0,1]
	s_delay_alu instid0(VALU_DEP_1) | instskip(NEXT) | instid1(VALU_DEP_1)
	v_mov_b32_e32 v7, v3
	v_pk_fma_f32 v[26:27], v[26:27], v[28:29], v[6:7] op_sel_hi:[1,0,1]
	v_mov_b32_e32 v29, v0
	s_delay_alu instid0(VALU_DEP_1) | instskip(NEXT) | instid1(VALU_DEP_1)
	v_pk_mul_f32 v[0:1], v[68:69], v[28:29]
	v_sub_f32_e32 v68, v0, v1
                                        ; implicit-def: $vgpr0
.LBB1_361:                              ;   in Loop: Header=BB1_19 Depth=1
	s_and_not1_saveexec_b32 s0, s2
; %bb.362:                              ;   in Loop: Header=BB1_19 Depth=1
	v_mov_b64_e32 v[26:27], v[0:1]
	s_delay_alu instid0(VALU_DEP_2)
	v_mul_f32_e32 v68, v68, v28
; %bb.363:                              ;   in Loop: Header=BB1_19 Depth=1
	s_or_b32 exec_lo, exec_lo, s0
.LBB1_364:                              ;   in Loop: Header=BB1_19 Depth=1
	s_delay_alu instid0(SALU_CYCLE_1) | instskip(SKIP_1) | instid1(VALU_DEP_1)
	s_or_b32 exec_lo, exec_lo, s1
	v_cndmask_b32_e64 v0, 0, 1, s6
	v_cmp_ne_u32_e32 vcc_lo, 0, v0
	s_and_saveexec_b32 s0, s5
	s_cbranch_execz .LBB1_366
; %bb.365:                              ;   in Loop: Header=BB1_19 Depth=1
	scratch_load_b64 v[2:3], off, off offset:72 ; 8-byte Folded Reload
	s_bcnt1_i32_b32 s1, vcc_lo
	s_wait_loadcnt 0x0
	flat_load_b32 v0, v[2:3] scope:SCOPE_SYS
	s_wait_loadcnt_dscnt 0x0
	v_add_nc_u32_e32 v0, s1, v0
	flat_store_b32 v[2:3], v0 scope:SCOPE_SYS
	s_wait_storecnt 0x0
	flat_load_b32 v0, v[58:59] scope:SCOPE_SYS
	s_wait_loadcnt_dscnt 0x0
	v_add_nc_u32_e32 v0, 1, v0
	flat_store_b32 v[58:59], v0 scope:SCOPE_SYS
	s_wait_storecnt 0x0
.LBB1_366:                              ;   in Loop: Header=BB1_19 Depth=1
	s_wait_xcnt 0x0
	s_or_b32 exec_lo, exec_lo, s0
.LBB1_367:                              ;   in Loop: Header=BB1_19 Depth=1
	s_or_b32 s1, s7, s6
	s_delay_alu instid0(SALU_CYCLE_1) | instskip(NEXT) | instid1(VALU_DEP_1)
	v_cndmask_b32_e64 v0, 0, 1, s1
	v_cmp_ne_u32_e32 vcc_lo, 0, v0
	s_cmp_eq_u32 vcc_lo, exec_lo
	s_cbranch_scc1 .LBB1_379
; %bb.368:                              ;   in Loop: Header=BB1_19 Depth=1
	v_and_b32_e32 v0, 0xff, v67
	s_delay_alu instid0(VALU_DEP_1)
	v_cmp_eq_u16_e32 vcc_lo, 6, v0
	s_cbranch_vccz .LBB1_372
; %bb.369:                              ;   in Loop: Header=BB1_19 Depth=1
	v_cndmask_b32_e64 v0, 0, 1, vcc_lo
	s_delay_alu instid0(VALU_DEP_1)
	v_cmp_ne_u32_e64 s0, 0, v0
	s_and_saveexec_b32 s2, s5
	s_cbranch_execz .LBB1_371
; %bb.370:                              ;   in Loop: Header=BB1_19 Depth=1
	scratch_load_b64 v[2:3], off, off offset:80 ; 8-byte Folded Reload
	s_bcnt1_i32_b32 s0, s0
	s_wait_loadcnt 0x0
	flat_load_b32 v0, v[2:3] scope:SCOPE_SYS
	s_wait_loadcnt_dscnt 0x0
	v_add_nc_u32_e32 v0, s0, v0
	flat_store_b32 v[2:3], v0 scope:SCOPE_SYS
	s_wait_storecnt 0x0
	flat_load_b32 v0, v[58:59] scope:SCOPE_SYS
	s_wait_loadcnt_dscnt 0x0
	v_add_nc_u32_e32 v0, 1, v0
	flat_store_b32 v[58:59], v0 scope:SCOPE_SYS
	s_wait_storecnt 0x0
.LBB1_371:                              ;   in Loop: Header=BB1_19 Depth=1
	s_wait_xcnt 0x0
	s_or_b32 exec_lo, exec_lo, s2
	v_cndmask_b32_e64 v67, v67, 8, vcc_lo
.LBB1_372:                              ;   in Loop: Header=BB1_19 Depth=1
	s_or_b32 s1, s1, vcc_lo
	s_delay_alu instid0(SALU_CYCLE_1) | instskip(NEXT) | instid1(VALU_DEP_1)
	v_cndmask_b32_e64 v0, 0, 1, s1
	v_cmp_ne_u32_e64 s0, 0, v0
	s_cmp_eq_u32 s0, exec_lo
	s_cbranch_scc1 .LBB1_378
; %bb.373:                              ;   in Loop: Header=BB1_19 Depth=1
	v_and_b32_e32 v0, 0xff, v67
	s_delay_alu instid0(VALU_DEP_1)
	v_cmp_eq_u16_e32 vcc_lo, 0, v0
	v_cndmask_b32_e64 v4, 0, 1, vcc_lo
	s_cbranch_vccz .LBB1_377
; %bb.374:                              ;   in Loop: Header=BB1_19 Depth=1
	v_cndmask_b32_e64 v0, 0, 1, vcc_lo
	s_delay_alu instid0(VALU_DEP_1)
	v_cmp_ne_u32_e64 s0, 0, v0
	s_and_saveexec_b32 s2, s5
	s_cbranch_execz .LBB1_376
; %bb.375:                              ;   in Loop: Header=BB1_19 Depth=1
	flat_load_b32 v0, v[38:39] scope:SCOPE_SYS
	s_wait_loadcnt 0x0
	s_bcnt1_i32_b32 s0, s0
	s_wait_dscnt 0x0
	v_add_nc_u32_e32 v0, s0, v0
	flat_store_b32 v[38:39], v0 scope:SCOPE_SYS
	s_wait_storecnt 0x0
	flat_load_b32 v0, v[58:59] scope:SCOPE_SYS
	s_wait_loadcnt_dscnt 0x0
	v_add_nc_u32_e32 v0, 1, v0
	flat_store_b32 v[58:59], v0 scope:SCOPE_SYS
	s_wait_storecnt 0x0
.LBB1_376:                              ;   in Loop: Header=BB1_19 Depth=1
	s_wait_xcnt 0x0
	s_or_b32 exec_lo, exec_lo, s2
	v_cndmask_b32_e64 v67, v67, 8, vcc_lo
.LBB1_377:                              ;   in Loop: Header=BB1_19 Depth=1
	s_nor_b32 s0, s1, vcc_lo
	s_delay_alu instid0(SALU_CYCLE_1) | instskip(NEXT) | instid1(VALU_DEP_1)
	v_cndmask_b32_e64 v0, 0, 1, s0
	v_cmp_ne_u32_e32 vcc_lo, 0, v0
	s_cmp_lg_u32 vcc_lo, exec_lo
	s_cselect_b32 s0, -1, 0
	s_xor_b32 s1, s33, -1
	s_delay_alu instid0(SALU_CYCLE_1)
	s_or_b32 s0, s1, s0
	s_branch .LBB1_381
.LBB1_378:                              ;   in Loop: Header=BB1_19 Depth=1
	v_cndmask_b32_e64 v4, 0, 1, vcc_lo
	s_branch .LBB1_380
.LBB1_379:                              ;   in Loop: Header=BB1_19 Depth=1
	v_cndmask_b32_e64 v4, 0, 1, s6
.LBB1_380:                              ;   in Loop: Header=BB1_19 Depth=1
	s_mov_b32 s0, -1
.LBB1_381:                              ;   in Loop: Header=BB1_19 Depth=1
	v_dual_mov_b32 v28, v68 :: v_dual_mov_b32 v24, v68
	s_branch .LBB1_254
.LBB1_382:
	s_and_b32 vcc_lo, exec_lo, s100
	s_cbranch_vccz .LBB1_384
; %bb.383:
	v_mov_b32_e32 v29, v25
	s_branch .LBB1_385
.LBB1_384:
	v_mov_b64_e32 v[28:29], v[24:25]
.LBB1_385:
	s_clause 0x2
	scratch_load_b64 v[42:43], off, off offset:40
	scratch_load_b64 v[44:45], off, off offset:48
	;; [unrolled: 1-line block ×3, first 2 shown]
	s_mov_b32 s0, exec_lo
	s_wait_storecnt 0x0
	s_wait_loadcnt_dscnt 0x0
	s_barrier_signal -1
	s_barrier_wait -1
	v_cmpx_gt_u32_e32 9, v31
	s_cbranch_execz .LBB1_387
; %bb.386:
	v_lshlrev_b32_e32 v0, 2, v31
	s_get_pc_i64 s[2:3]
	s_add_nc_u64 s[2:3], s[2:3], total_step_counts@rel64+4
	s_mul_u64 s[4:5], s[10:11], 0x48
	s_load_b64 s[2:3], s[2:3], 0x0
	v_add_nc_u32_e32 v5, 0x4000, v0
	ds_load_2addr_b32 v[0:1], v5 offset0:80 offset1:89
	ds_load_2addr_b32 v[2:3], v5 offset0:98 offset1:107
	;; [unrolled: 1-line block ×5, first 2 shown]
	s_wait_kmcnt 0x0
	s_add_nc_u64 s[2:3], s[2:3], s[4:5]
	s_wait_dscnt 0x4
	v_add_nc_u32_e32 v12, v1, v0
	ds_load_2addr_b32 v[0:1], v5 offset0:170 offset1:179
	s_wait_dscnt 0x4
	v_add3_u32 v12, v2, v12, v3
	ds_load_2addr_b32 v[2:3], v5 offset0:188 offset1:197
	s_wait_dscnt 0x4
	v_add3_u32 v12, v6, v12, v7
	ds_load_2addr_b32 v[6:7], v5 offset0:206 offset1:215
	s_wait_dscnt 0x4
	v_add3_u32 v5, v8, v12, v9
	s_wait_dscnt 0x3
	s_delay_alu instid0(VALU_DEP_1) | instskip(SKIP_1) | instid1(VALU_DEP_1)
	v_add3_u32 v5, v10, v5, v11
	s_wait_dscnt 0x2
	v_add3_u32 v0, v0, v5, v1
	v_mov_b32_e32 v1, 0
	s_wait_dscnt 0x1
	s_delay_alu instid0(VALU_DEP_2) | instskip(SKIP_1) | instid1(VALU_DEP_1)
	v_add3_u32 v0, v2, v0, v3
	s_wait_dscnt 0x0
	v_add3_u32 v0, v6, v0, v7
	global_store_b64 v31, v[0:1], s[2:3] scale_offset
.LBB1_387:
	s_wait_xcnt 0x0
	s_or_b32 exec_lo, exec_lo, s0
	s_delay_alu instid0(SALU_CYCLE_1)
	s_mov_b32 s2, exec_lo
	v_cmpx_eq_u32_e32 0, v31
	s_cbranch_execz .LBB1_391
; %bb.388:
	v_mov_b32_e32 v1, 0
	s_mov_b64 s[0:1], src_shared_base
	s_movk_i32 s0, 0x4480
	flat_load_b64 v[2:3], v1, s[0:1] scope:SCOPE_SYS
	s_wait_loadcnt 0x0
	s_wait_xcnt 0x0
	s_movk_i32 s0, 0x4488
	s_wait_dscnt 0x0
	v_add_f64_e32 v[2:3], 0, v[2:3]
	flat_load_b64 v[6:7], v1, s[0:1] scope:SCOPE_SYS
	s_wait_loadcnt 0x0
	s_wait_xcnt 0x0
	s_movk_i32 s0, 0x4490
	flat_load_b64 v[8:9], v1, s[0:1] scope:SCOPE_SYS
	s_wait_loadcnt 0x0
	s_wait_xcnt 0x0
	s_movk_i32 s0, 0x4498
	;; [unrolled: 4-line block ×10, first 2 shown]
	s_wait_dscnt 0x9
	v_add_f64_e32 v[2:3], v[2:3], v[6:7]
	flat_load_b64 v[6:7], v1, s[0:1] scope:SCOPE_SYS
	s_wait_loadcnt 0x0
	s_wait_xcnt 0x0
	s_movk_i32 s0, 0x44e0
	s_wait_dscnt 0x9
	v_add_f64_e32 v[2:3], v[2:3], v[8:9]
	flat_load_b64 v[8:9], v1, s[0:1] scope:SCOPE_SYS
	s_wait_loadcnt 0x0
	s_wait_xcnt 0x0
	s_movk_i32 s0, 0x44e8
	;; [unrolled: 6-line block ×4, first 2 shown]
	s_wait_dscnt 0x9
	v_add_f64_e32 v[2:3], v[2:3], v[14:15]
	flat_load_b64 v[14:15], v1, s[0:1] scope:SCOPE_SYS
	s_wait_loadcnt 0x0
	s_wait_xcnt 0x0
	s_mov_b32 s0, exec_lo
	s_wait_dscnt 0x9
	v_add_f64_e32 v[2:3], v[2:3], v[16:17]
	s_wait_dscnt 0x8
	s_delay_alu instid0(VALU_DEP_1) | instskip(SKIP_1) | instid1(VALU_DEP_1)
	v_add_f64_e32 v[2:3], v[2:3], v[18:19]
	s_wait_dscnt 0x7
	v_add_f64_e32 v[2:3], v[2:3], v[20:21]
	s_wait_dscnt 0x6
	s_delay_alu instid0(VALU_DEP_1) | instskip(SKIP_1) | instid1(VALU_DEP_1)
	v_add_f64_e32 v[2:3], v[2:3], v[32:33]
	;; [unrolled: 5-line block ×4, first 2 shown]
	s_wait_dscnt 0x1
	v_add_f64_e32 v[2:3], v[2:3], v[12:13]
	s_wait_dscnt 0x0
	s_delay_alu instid0(VALU_DEP_1) | instskip(NEXT) | instid1(VALU_DEP_1)
	v_add_f64_e32 v[2:3], v[2:3], v[14:15]
	v_cmpx_lt_f64_e32 0, v[2:3]
	s_cbranch_execz .LBB1_390
; %bb.389:
	s_get_pc_i64 s[4:5]
	s_add_nc_u64 s[4:5], s[4:5], total_weights@rel64+4
	s_lshl_b64 s[6:7], s[10:11], 3
	s_load_b64 s[4:5], s[4:5], 0x0
	s_wait_kmcnt 0x0
	s_add_nc_u64 s[4:5], s[4:5], s[6:7]
	global_load_b64 v[6:7], v1, s[4:5]
	s_wait_loadcnt 0x0
	v_add_f64_e32 v[2:3], v[2:3], v[6:7]
	global_store_b64 v1, v[2:3], s[4:5]
.LBB1_390:
	s_wait_xcnt 0x0
	s_or_b32 exec_lo, exec_lo, s0
	s_mov_b64 s[0:1], src_shared_base
	s_movk_i32 s0, 0x4500
	s_get_pc_i64 s[4:5]
	s_add_nc_u64 s[4:5], s[4:5], total_num_inner_iterations@rel64+4
	flat_load_b32 v0, v1, s[0:1] scope:SCOPE_SYS
	s_wait_loadcnt 0x0
	s_wait_xcnt 0x0
	s_movk_i32 s0, 0x4540
	flat_load_b32 v2, v1, s[0:1] scope:SCOPE_SYS
	s_wait_loadcnt 0x0
	s_wait_xcnt 0x0
	s_movk_i32 s0, 0x4504
	;; [unrolled: 4-line block ×31, first 2 shown]
	flat_load_b32 v41, v1, s[0:1] scope:SCOPE_SYS
	s_wait_loadcnt 0x0
	s_wait_xcnt 0x0
	s_get_pc_i64 s[0:1]
	s_add_nc_u64 s[0:1], s[0:1], total_list_depth@rel64+4
	s_load_b64 s[6:7], s[0:1], 0x0
	s_load_b64 s[8:9], s[4:5], 0x0
	s_wait_xcnt 0x0
	s_lshl_b64 s[0:1], s[10:11], 3
	s_wait_kmcnt 0x0
	s_add_nc_u64 s[4:5], s[6:7], s[0:1]
	s_add_nc_u64 s[0:1], s[8:9], s[0:1]
	s_wait_dscnt 0x1d
	v_dual_mov_b32 v3, v1 :: v_dual_add_nc_u32 v0, v3, v0
	s_wait_dscnt 0x1c
	v_add_nc_u32_e32 v2, v5, v2
	s_wait_dscnt 0x19
	s_delay_alu instid0(VALU_DEP_2) | instskip(SKIP_1) | instid1(VALU_DEP_2)
	v_add3_u32 v0, v6, v0, v8
	s_wait_dscnt 0x18
	v_add3_u32 v2, v7, v2, v9
	s_wait_dscnt 0x15
	s_delay_alu instid0(VALU_DEP_2) | instskip(SKIP_1) | instid1(VALU_DEP_2)
	v_add3_u32 v0, v10, v0, v12
	s_wait_dscnt 0x14
	v_add3_u32 v2, v11, v2, v13
	;; [unrolled: 5-line block ×7, first 2 shown]
	s_clause 0x1
	global_store_b64 v1, v[0:1], s[4:5]
	global_store_b64 v1, v[2:3], s[0:1]
.LBB1_391:
	s_wait_xcnt 0x0
	s_or_b32 exec_lo, exec_lo, s2
	v_and_b32_e32 v1, 0xff, v74
	v_and_b32_e32 v2, 0xff, v79
	v_lshlrev_b32_e32 v0, 24, v4
	v_and_b32_e32 v6, 0xff, v67
	v_dual_mov_b32 v3, v70 :: v_dual_mov_b32 v4, v71
	v_dual_mov_b32 v5, v36 :: v_dual_mov_b32 v23, v52
	s_delay_alu instid0(VALU_DEP_4) | instskip(SKIP_2) | instid1(VALU_DEP_1)
	v_lshl_or_b32 v0, v1, 16, v0
	v_dual_mov_b32 v24, v53 :: v_dual_lshlrev_b32 v1, 8, v2
	s_mov_b32 s0, 0
	v_or3_b32 v2, v0, v1, v6
	v_lshl_add_u32 v0, s10, 11, v65
	global_store_b128 v[44:45], v[2:5], off
	global_store_b128 v[46:47], v[22:25], off
	;; [unrolled: 1-line block ×3, first 2 shown]
.LBB1_392:                              ; =>This Inner Loop Header: Depth=1
	ds_load_b32 v1, v64
	s_wait_xcnt 0x2
	v_dual_add_nc_u32 v2, 32, v30 :: v_dual_add_nc_u32 v3, v0, v30
	v_cmp_lt_u32_e32 vcc_lo, 0x44, v30
	v_add_nc_u32_e32 v64, 0x80, v64
	s_delay_alu instid0(VALU_DEP_3)
	v_mov_b32_e32 v30, v2
	s_or_b32 s0, vcc_lo, s0
	s_wait_dscnt 0x0
	global_store_b32 v3, v1, s[28:29] scale_offset
	s_wait_xcnt 0x0
	s_and_not1_b32 exec_lo, exec_lo, s0
	s_cbranch_execnz .LBB1_392
; %bb.393:
	s_sendmsg sendmsg(MSG_DEALLOC_VGPRS)
	s_endpgm
	.section	.rodata,"a",@progbits
	.p2align	6, 0x0
	.amdhsa_kernel _Z22simulation_step_kernelbb
		.amdhsa_group_segment_fixed_size 17808
		.amdhsa_private_segment_fixed_size 96
		.amdhsa_kernarg_size 264
		.amdhsa_user_sgpr_count 2
		.amdhsa_user_sgpr_dispatch_ptr 0
		.amdhsa_user_sgpr_queue_ptr 0
		.amdhsa_user_sgpr_kernarg_segment_ptr 1
		.amdhsa_user_sgpr_dispatch_id 0
		.amdhsa_user_sgpr_kernarg_preload_length 0
		.amdhsa_user_sgpr_kernarg_preload_offset 0
		.amdhsa_user_sgpr_private_segment_size 0
		.amdhsa_wavefront_size32 1
		.amdhsa_uses_dynamic_stack 0
		.amdhsa_enable_private_segment 1
		.amdhsa_system_sgpr_workgroup_id_x 1
		.amdhsa_system_sgpr_workgroup_id_y 1
		.amdhsa_system_sgpr_workgroup_id_z 0
		.amdhsa_system_sgpr_workgroup_info 0
		.amdhsa_system_vgpr_workitem_id 0
		.amdhsa_next_free_vgpr 128
		.amdhsa_next_free_sgpr 105
		.amdhsa_named_barrier_count 0
		.amdhsa_reserve_vcc 1
		.amdhsa_float_round_mode_32 0
		.amdhsa_float_round_mode_16_64 0
		.amdhsa_float_denorm_mode_32 3
		.amdhsa_float_denorm_mode_16_64 3
		.amdhsa_fp16_overflow 0
		.amdhsa_memory_ordered 1
		.amdhsa_forward_progress 1
		.amdhsa_inst_pref_size 166
		.amdhsa_round_robin_scheduling 0
		.amdhsa_exception_fp_ieee_invalid_op 0
		.amdhsa_exception_fp_denorm_src 0
		.amdhsa_exception_fp_ieee_div_zero 0
		.amdhsa_exception_fp_ieee_overflow 0
		.amdhsa_exception_fp_ieee_underflow 0
		.amdhsa_exception_fp_ieee_inexact 0
		.amdhsa_exception_int_div_zero 0
	.end_amdhsa_kernel
	.text
.Lfunc_end1:
	.size	_Z22simulation_step_kernelbb, .Lfunc_end1-_Z22simulation_step_kernelbb
                                        ; -- End function
	.set _Z22simulation_step_kernelbb.num_vgpr, max(128, .L_Z17MT_generate_arrayv.num_vgpr)
	.set _Z22simulation_step_kernelbb.num_agpr, max(0, .L_Z17MT_generate_arrayv.num_agpr)
	.set _Z22simulation_step_kernelbb.numbered_sgpr, max(105, .L_Z17MT_generate_arrayv.numbered_sgpr)
	.set _Z22simulation_step_kernelbb.num_named_barrier, max(0, .L_Z17MT_generate_arrayv.num_named_barrier)
	.set _Z22simulation_step_kernelbb.private_seg_size, 96+max(.L_Z17MT_generate_arrayv.private_seg_size)
	.set _Z22simulation_step_kernelbb.uses_vcc, or(1, .L_Z17MT_generate_arrayv.uses_vcc)
	.set _Z22simulation_step_kernelbb.uses_flat_scratch, or(1, .L_Z17MT_generate_arrayv.uses_flat_scratch)
	.set _Z22simulation_step_kernelbb.has_dyn_sized_stack, or(0, .L_Z17MT_generate_arrayv.has_dyn_sized_stack)
	.set _Z22simulation_step_kernelbb.has_recursion, or(0, .L_Z17MT_generate_arrayv.has_recursion)
	.set _Z22simulation_step_kernelbb.has_indirect_call, or(0, .L_Z17MT_generate_arrayv.has_indirect_call)
	.section	.AMDGPU.csdata,"",@progbits
; Kernel info:
; codeLenInByte = 21180
; TotalNumSgprs: 107
; NumVgprs: 128
; ScratchSize: 96
; MemoryBound: 1
; FloatMode: 240
; IeeeMode: 1
; LDSByteSize: 17808 bytes/workgroup (compile time only)
; SGPRBlocks: 0
; VGPRBlocks: 7
; NumSGPRsForWavesPerEU: 107
; NumVGPRsForWavesPerEU: 128
; NamedBarCnt: 0
; Occupancy: 8
; WaveLimiterHint : 1
; COMPUTE_PGM_RSRC2:SCRATCH_EN: 1
; COMPUTE_PGM_RSRC2:USER_SGPR: 2
; COMPUTE_PGM_RSRC2:TRAP_HANDLER: 0
; COMPUTE_PGM_RSRC2:TGID_X_EN: 1
; COMPUTE_PGM_RSRC2:TGID_Y_EN: 1
; COMPUTE_PGM_RSRC2:TGID_Z_EN: 0
; COMPUTE_PGM_RSRC2:TIDIG_COMP_CNT: 0
	.text
	.protected	_Z26sum_detector_scores_kernelv ; -- Begin function _Z26sum_detector_scores_kernelv
	.globl	_Z26sum_detector_scores_kernelv
	.p2align	8
	.type	_Z26sum_detector_scores_kernelv,@function
_Z26sum_detector_scores_kernelv:        ; @_Z26sum_detector_scores_kernelv
; %bb.0:
	s_get_pc_i64 s[0:1]
	s_add_nc_u64 s[0:1], s[0:1], detector@rel64+28
	s_load_b64 s[0:1], s[0:1], 0x0
	s_wait_kmcnt 0x0
	s_mul_i32 s8, s1, s0
	s_mov_b32 s0, exec_lo
	v_cmpx_gt_u32_e64 s8, v0
	s_cbranch_execz .LBB2_5
; %bb.1:
	s_bfe_u32 s0, ttmp6, 0x4000c
	s_and_b32 s1, ttmp6, 15
	s_add_co_i32 s0, s0, 1
	s_getreg_b32 s2, hwreg(HW_REG_IB_STS2, 6, 4)
	s_mul_i32 s0, ttmp9, s0
	s_get_pc_i64 s[6:7]
	s_add_nc_u64 s[6:7], s[6:7], detector_totals_energy@rel64+4
	s_add_co_i32 s1, s1, s0
	s_cmp_eq_u32 s2, 0
	s_get_pc_i64 s[2:3]
	s_add_nc_u64 s[2:3], s[2:3], detector_totals_count@rel64+4
	s_cselect_b32 s1, ttmp9, s1
	s_get_pc_i64 s[10:11]
	s_add_nc_u64 s[10:11], s[10:11], detector_scores_energy@rel64+4
	s_and_b32 s4, s1, 3
	v_mov_b32_e32 v1, 0
	s_lshl_b32 s0, s4, 3
	s_cmp_lt_u32 s1, 4
	s_mov_b32 s1, 0
	s_cselect_b32 s3, s7, s3
	s_cselect_b32 s2, s6, s2
	s_get_pc_i64 s[6:7]
	s_add_nc_u64 s[6:7], s[6:7], detector_scores_count@rel64+4
	s_load_b64 s[2:3], s[2:3], s4 offset:0x0 scale_offset
	s_cselect_b32 s7, s11, s7
	s_cselect_b32 s6, s10, s6
	s_delay_alu instid0(SALU_CYCLE_1)
	s_add_nc_u64 s[6:7], s[6:7], s[0:1]
	s_and_b32 s0, 0xffff, s5
.LBB2_2:                                ; =>This Loop Header: Depth=1
                                        ;     Child Loop BB2_3 Depth 2
	v_mov_b64_e32 v[4:5], 0
	v_lshlrev_b64_e32 v[2:3], 2, v[0:1]
	s_wait_xcnt 0x0
	s_mov_b64 s[4:5], 0
.LBB2_3:                                ;   Parent Loop BB2_2 Depth=1
                                        ; =>  This Inner Loop Header: Depth=2
	s_delay_alu instid0(SALU_CYCLE_1)
	s_add_nc_u64 s[10:11], s[6:7], s[4:5]
	s_add_nc_u64 s[4:5], s[4:5], 0x200
	s_clause 0x3
	s_load_b64 s[12:13], s[10:11], 0x0
	s_load_b64 s[14:15], s[10:11], 0x20
	;; [unrolled: 1-line block ×4, first 2 shown]
	s_cmp_eq_u32 s4, 0xa00
	s_wait_kmcnt 0x0
	v_add_nc_u64_e32 v[6:7], s[12:13], v[2:3]
	global_load_b32 v8, v[6:7], off
	s_wait_xcnt 0x0
	v_add_nc_u64_e32 v[6:7], s[14:15], v[2:3]
	global_load_b32 v10, v[6:7], off
	s_wait_xcnt 0x0
	;; [unrolled: 3-line block ×3, first 2 shown]
	v_add_nc_u64_e32 v[6:7], s[18:19], v[2:3]
	global_load_b32 v12, v[6:7], off
	s_clause 0x3
	s_load_b64 s[12:13], s[10:11], 0x80
	s_load_b64 s[14:15], s[10:11], 0xa0
	;; [unrolled: 1-line block ×4, first 2 shown]
	s_wait_kmcnt 0x0
	v_add_nc_u64_e32 v[6:7], s[12:13], v[2:3]
	global_load_b32 v13, v[6:7], off
	s_wait_xcnt 0x0
	v_add_nc_u64_e32 v[6:7], s[14:15], v[2:3]
	global_load_b32 v14, v[6:7], off
	s_wait_xcnt 0x0
	;; [unrolled: 3-line block ×3, first 2 shown]
	v_add_nc_u64_e32 v[6:7], s[18:19], v[2:3]
	global_load_b32 v16, v[6:7], off
	s_clause 0x3
	s_load_b64 s[12:13], s[10:11], 0x100
	s_load_b64 s[14:15], s[10:11], 0x120
	;; [unrolled: 1-line block ×4, first 2 shown]
	s_wait_kmcnt 0x0
	v_add_nc_u64_e32 v[6:7], s[12:13], v[2:3]
	global_load_b32 v17, v[6:7], off
	s_wait_xcnt 0x0
	v_add_nc_u64_e32 v[6:7], s[14:15], v[2:3]
	global_load_b32 v18, v[6:7], off
	s_wait_xcnt 0x0
	v_add_nc_u64_e32 v[6:7], s[16:17], v[2:3]
	global_load_b32 v19, v[6:7], off
	s_wait_loadcnt 0xa
	s_wait_xcnt 0x0
	v_cvt_f64_f32_e32 v[6:7], v8
	v_add_nc_u64_e32 v[8:9], s[18:19], v[2:3]
	global_load_b32 v20, v[8:9], off
	s_wait_loadcnt 0xa
	s_wait_xcnt 0x0
	v_cvt_f64_f32_e32 v[8:9], v10
	s_clause 0x3
	s_load_b64 s[12:13], s[10:11], 0x180
	s_load_b64 s[14:15], s[10:11], 0x1a0
	;; [unrolled: 1-line block ×4, first 2 shown]
	v_add_f64_e32 v[4:5], v[4:5], v[6:7]
	s_wait_kmcnt 0x0
	v_add_nc_u64_e32 v[6:7], s[12:13], v[2:3]
	global_load_b32 v10, v[6:7], off
	s_wait_loadcnt 0xa
	s_wait_xcnt 0x0
	v_cvt_f64_f32_e32 v[6:7], v11
	v_add_f64_e32 v[4:5], v[4:5], v[8:9]
	v_add_nc_u64_e32 v[8:9], s[14:15], v[2:3]
	global_load_b32 v11, v[8:9], off
	s_wait_loadcnt 0xa
	s_wait_xcnt 0x0
	v_cvt_f64_f32_e32 v[8:9], v12
	v_add_f64_e32 v[4:5], v[4:5], v[6:7]
	;; [unrolled: 6-line block ×4, first 2 shown]
	s_wait_loadcnt 0x9
	v_cvt_f64_f32_e32 v[6:7], v15
	s_delay_alu instid0(VALU_DEP_2) | instskip(SKIP_2) | instid1(VALU_DEP_2)
	v_add_f64_e32 v[4:5], v[4:5], v[8:9]
	s_wait_loadcnt 0x8
	v_cvt_f64_f32_e32 v[8:9], v16
	v_add_f64_e32 v[4:5], v[4:5], v[6:7]
	s_wait_loadcnt 0x7
	v_cvt_f64_f32_e32 v[6:7], v17
	s_delay_alu instid0(VALU_DEP_2) | instskip(SKIP_2) | instid1(VALU_DEP_2)
	v_add_f64_e32 v[4:5], v[4:5], v[8:9]
	s_wait_loadcnt 0x6
	v_cvt_f64_f32_e32 v[8:9], v18
	v_add_f64_e32 v[4:5], v[4:5], v[6:7]
	;; [unrolled: 7-line block ×5, first 2 shown]
	s_delay_alu instid0(VALU_DEP_1)
	v_add_f64_e32 v[4:5], v[4:5], v[8:9]
	s_cbranch_scc0 .LBB2_3
; %bb.4:                                ;   in Loop: Header=BB2_2 Depth=1
	v_lshl_add_u64 v[2:3], v[0:1], 3, s[2:3]
	v_add_nc_u32_e32 v0, s0, v0
	global_load_b64 v[6:7], v[2:3], off
	v_cmp_le_u32_e32 vcc_lo, s8, v0
	s_or_b32 s1, vcc_lo, s1
	s_wait_loadcnt 0x0
	v_add_f64_e32 v[4:5], v[4:5], v[6:7]
	global_store_b64 v[2:3], v[4:5], off
	s_wait_xcnt 0x0
	s_and_not1_b32 exec_lo, exec_lo, s1
	s_cbranch_execnz .LBB2_2
.LBB2_5:
	s_endpgm
	.section	.rodata,"a",@progbits
	.p2align	6, 0x0
	.amdhsa_kernel _Z26sum_detector_scores_kernelv
		.amdhsa_group_segment_fixed_size 0
		.amdhsa_private_segment_fixed_size 0
		.amdhsa_kernarg_size 256
		.amdhsa_user_sgpr_count 6
		.amdhsa_user_sgpr_dispatch_ptr 0
		.amdhsa_user_sgpr_queue_ptr 0
		.amdhsa_user_sgpr_kernarg_segment_ptr 1
		.amdhsa_user_sgpr_dispatch_id 0
		.amdhsa_user_sgpr_kernarg_preload_length 4
		.amdhsa_user_sgpr_kernarg_preload_offset 0
		.amdhsa_user_sgpr_private_segment_size 0
		.amdhsa_wavefront_size32 1
		.amdhsa_uses_dynamic_stack 0
		.amdhsa_enable_private_segment 0
		.amdhsa_system_sgpr_workgroup_id_x 1
		.amdhsa_system_sgpr_workgroup_id_y 0
		.amdhsa_system_sgpr_workgroup_id_z 0
		.amdhsa_system_sgpr_workgroup_info 0
		.amdhsa_system_vgpr_workitem_id 0
		.amdhsa_next_free_vgpr 21
		.amdhsa_next_free_sgpr 20
		.amdhsa_named_barrier_count 0
		.amdhsa_reserve_vcc 1
		.amdhsa_float_round_mode_32 0
		.amdhsa_float_round_mode_16_64 0
		.amdhsa_float_denorm_mode_32 3
		.amdhsa_float_denorm_mode_16_64 3
		.amdhsa_fp16_overflow 0
		.amdhsa_memory_ordered 1
		.amdhsa_forward_progress 1
		.amdhsa_inst_pref_size 8
		.amdhsa_round_robin_scheduling 0
		.amdhsa_exception_fp_ieee_invalid_op 0
		.amdhsa_exception_fp_denorm_src 0
		.amdhsa_exception_fp_ieee_div_zero 0
		.amdhsa_exception_fp_ieee_overflow 0
		.amdhsa_exception_fp_ieee_underflow 0
		.amdhsa_exception_fp_ieee_inexact 0
		.amdhsa_exception_int_div_zero 0
	.end_amdhsa_kernel
	.text
.Lfunc_end2:
	.size	_Z26sum_detector_scores_kernelv, .Lfunc_end2-_Z26sum_detector_scores_kernelv
                                        ; -- End function
	.set _Z26sum_detector_scores_kernelv.num_vgpr, 21
	.set _Z26sum_detector_scores_kernelv.num_agpr, 0
	.set _Z26sum_detector_scores_kernelv.numbered_sgpr, 20
	.set _Z26sum_detector_scores_kernelv.num_named_barrier, 0
	.set _Z26sum_detector_scores_kernelv.private_seg_size, 0
	.set _Z26sum_detector_scores_kernelv.uses_vcc, 1
	.set _Z26sum_detector_scores_kernelv.uses_flat_scratch, 0
	.set _Z26sum_detector_scores_kernelv.has_dyn_sized_stack, 0
	.set _Z26sum_detector_scores_kernelv.has_recursion, 0
	.set _Z26sum_detector_scores_kernelv.has_indirect_call, 0
	.section	.AMDGPU.csdata,"",@progbits
; Kernel info:
; codeLenInByte = 1008
; TotalNumSgprs: 22
; NumVgprs: 21
; ScratchSize: 0
; MemoryBound: 0
; FloatMode: 240
; IeeeMode: 1
; LDSByteSize: 0 bytes/workgroup (compile time only)
; SGPRBlocks: 0
; VGPRBlocks: 1
; NumSGPRsForWavesPerEU: 22
; NumVGPRsForWavesPerEU: 21
; NamedBarCnt: 0
; Occupancy: 16
; WaveLimiterHint : 0
; COMPUTE_PGM_RSRC2:SCRATCH_EN: 0
; COMPUTE_PGM_RSRC2:USER_SGPR: 6
; COMPUTE_PGM_RSRC2:TRAP_HANDLER: 0
; COMPUTE_PGM_RSRC2:TGID_X_EN: 1
; COMPUTE_PGM_RSRC2:TGID_Y_EN: 0
; COMPUTE_PGM_RSRC2:TGID_Z_EN: 0
; COMPUTE_PGM_RSRC2:TIDIG_COMP_CNT: 0
	.text
	.p2alignl 7, 3214868480
	.fill 96, 4, 3214868480
	.section	.AMDGPU.gpr_maximums,"",@progbits
	.set amdgpu.max_num_vgpr, 32
	.set amdgpu.max_num_agpr, 0
	.set amdgpu.max_num_sgpr, 32
	.text
	.protected	stack                   ; @stack
	.type	stack,@object
	.section	.rodata,"a",@progbits
	.globl	stack
	.p2align	3, 0x0
stack:
	.zero	24
	.size	stack, 24

	.protected	total_list_depth        ; @total_list_depth
	.type	total_list_depth,@object
	.globl	total_list_depth
	.p2align	3, 0x0
total_list_depth:
	.quad	0
	.size	total_list_depth, 8

	.protected	total_num_inner_iterations ; @total_num_inner_iterations
	.type	total_num_inner_iterations,@object
	.globl	total_num_inner_iterations
	.p2align	3, 0x0
total_num_inner_iterations:
	.quad	0
	.size	total_num_inner_iterations, 8

	.protected	detector_scores_count   ; @detector_scores_count
	.type	detector_scores_count,@object
	.globl	detector_scores_count
	.p2align	4, 0x0
detector_scores_count:
	.zero	2560
	.size	detector_scores_count, 2560

	.protected	detector_scores_energy  ; @detector_scores_energy
	.type	detector_scores_energy,@object
	.globl	detector_scores_energy
	.p2align	4, 0x0
detector_scores_energy:
	.zero	2560
	.size	detector_scores_energy, 2560

	.protected	detector_totals_count   ; @detector_totals_count
	.type	detector_totals_count,@object
	.globl	detector_totals_count
	.p2align	4, 0x0
detector_totals_count:
	.zero	32
	.size	detector_totals_count, 32

	.protected	detector_totals_energy  ; @detector_totals_energy
	.type	detector_totals_energy,@object
	.globl	detector_totals_energy
	.p2align	4, 0x0
detector_totals_energy:
	.zero	32
	.size	detector_totals_energy, 32

	.protected	total_weights           ; @total_weights
	.type	total_weights,@object
	.globl	total_weights
	.p2align	3, 0x0
total_weights:
	.quad	0
	.size	total_weights, 8

	.protected	total_step_counts       ; @total_step_counts
	.type	total_step_counts,@object
	.globl	total_step_counts
	.p2align	3, 0x0
total_step_counts:
	.quad	0
	.size	total_step_counts, 8

	.protected	MT_statuses             ; @MT_statuses
	.type	MT_statuses,@object
	.globl	MT_statuses
	.p2align	3, 0x0
MT_statuses:
	.quad	0
	.size	MT_statuses, 8

	.protected	MT_params               ; @MT_params
	.type	MT_params,@object
	.globl	MT_params
	.p2align	3, 0x0
MT_params:
	.quad	0
	.size	MT_params, 8

	.protected	MT_tables               ; @MT_tables
	.type	MT_tables,@object
	.globl	MT_tables
	.p2align	3, 0x0
MT_tables:
	.quad	0
	.size	MT_tables, 8

	.protected	detector                ; @detector
	.type	detector,@object
	.globl	detector
	.p2align	3, 0x0
detector:
	.zero	32
	.size	detector, 32

	.protected	source                  ; @source
	.type	source,@object
	.globl	source
	.p2align	3, 0x0
source:
	.zero	80
	.size	source, 80

	.protected	phantom                 ; @phantom
	.type	phantom,@object
	.globl	phantom
	.p2align	3, 0x0
phantom:
	.zero	40
	.size	phantom, 40

	.protected	region_data             ; @region_data
	.type	region_data,@object
	.globl	region_data
	.p2align	3, 0x0
region_data:
	.quad	0
	.size	region_data, 8

	.protected	ge                      ; @ge
	.type	ge,@object
	.globl	ge
	.p2align	3, 0x0
ge:
	.quad	0
	.size	ge, 8

	.protected	gmfp                    ; @gmfp
	.type	gmfp,@object
	.globl	gmfp
	.p2align	3, 0x0
gmfp:
	.quad	0
	.size	gmfp, 8

	.protected	gbr1                    ; @gbr1
	.type	gbr1,@object
	.globl	gbr1
	.p2align	3, 0x0
gbr1:
	.quad	0
	.size	gbr1, 8

	.protected	gbr2                    ; @gbr2
	.type	gbr2,@object
	.globl	gbr2
	.p2align	3, 0x0
gbr2:
	.quad	0
	.size	gbr2, 8

	.protected	cohe                    ; @cohe
	.type	cohe,@object
	.globl	cohe
	.p2align	3, 0x0
cohe:
	.quad	0
	.size	cohe, 8

	.protected	pmax                    ; @pmax
	.type	pmax,@object
	.globl	pmax
	.p2align	3, 0x0
pmax:
	.quad	0
	.size	pmax, 8

	.protected	rayleigh_data           ; @rayleigh_data
	.type	rayleigh_data,@object
	.globl	rayleigh_data
	.p2align	3, 0x0
rayleigh_data:
	.quad	0
	.size	rayleigh_data, 8

	.protected	i_array                 ; @i_array
	.type	i_array,@object
	.globl	i_array
	.p2align	3, 0x0
i_array:
	.quad	0
	.size	i_array, 8

	.type	__hip_cuid_e337d6624dcf60f7,@object ; @__hip_cuid_e337d6624dcf60f7
	.section	.bss,"aw",@nobits
	.globl	__hip_cuid_e337d6624dcf60f7
__hip_cuid_e337d6624dcf60f7:
	.byte	0                               ; 0x0
	.size	__hip_cuid_e337d6624dcf60f7, 1

	.ident	"AMD clang version 22.0.0git (https://github.com/RadeonOpenCompute/llvm-project roc-7.2.4 26084 f58b06dce1f9c15707c5f808fd002e18c2accf7e)"
	.section	".note.GNU-stack","",@progbits
	.addrsig
	.addrsig_sym stack
	.addrsig_sym total_list_depth
	.addrsig_sym total_num_inner_iterations
	.addrsig_sym detector_scores_count
	.addrsig_sym detector_scores_energy
	.addrsig_sym detector_totals_count
	.addrsig_sym detector_totals_energy
	.addrsig_sym total_weights
	.addrsig_sym total_step_counts
	.addrsig_sym MT_statuses
	.addrsig_sym MT_params
	.addrsig_sym MT_tables
	.addrsig_sym detector
	.addrsig_sym source
	.addrsig_sym phantom
	.addrsig_sym region_data
	.addrsig_sym ge
	.addrsig_sym gmfp
	.addrsig_sym gbr1
	.addrsig_sym gbr2
	.addrsig_sym cohe
	.addrsig_sym pmax
	.addrsig_sym rayleigh_data
	.addrsig_sym i_array
	.addrsig_sym __hip_cuid_e337d6624dcf60f7
	.amdgpu_metadata
---
amdhsa.kernels:
  - .args:
      - .offset:         0
        .size:           1
        .value_kind:     by_value
      - .offset:         1
        .size:           1
        .value_kind:     by_value
      - .offset:         8
        .size:           4
        .value_kind:     hidden_block_count_x
      - .offset:         12
        .size:           4
        .value_kind:     hidden_block_count_y
      - .offset:         16
        .size:           4
        .value_kind:     hidden_block_count_z
      - .offset:         20
        .size:           2
        .value_kind:     hidden_group_size_x
      - .offset:         22
        .size:           2
        .value_kind:     hidden_group_size_y
      - .offset:         24
        .size:           2
        .value_kind:     hidden_group_size_z
      - .offset:         26
        .size:           2
        .value_kind:     hidden_remainder_x
      - .offset:         28
        .size:           2
        .value_kind:     hidden_remainder_y
      - .offset:         30
        .size:           2
        .value_kind:     hidden_remainder_z
      - .offset:         48
        .size:           8
        .value_kind:     hidden_global_offset_x
      - .offset:         56
        .size:           8
        .value_kind:     hidden_global_offset_y
      - .offset:         64
        .size:           8
        .value_kind:     hidden_global_offset_z
      - .offset:         72
        .size:           2
        .value_kind:     hidden_grid_dims
    .group_segment_fixed_size: 17808
    .kernarg_segment_align: 8
    .kernarg_segment_size: 264
    .language:       OpenCL C
    .language_version:
      - 2
      - 0
    .max_flat_workgroup_size: 1024
    .name:           _Z22simulation_step_kernelbb
    .private_segment_fixed_size: 96
    .sgpr_count:     107
    .sgpr_spill_count: 0
    .symbol:         _Z22simulation_step_kernelbb.kd
    .uniform_work_group_size: 1
    .uses_dynamic_stack: false
    .vgpr_count:     128
    .vgpr_spill_count: 22
    .wavefront_size: 32
  - .args:
      - .offset:         0
        .size:           4
        .value_kind:     hidden_block_count_x
      - .offset:         4
        .size:           4
        .value_kind:     hidden_block_count_y
      - .offset:         8
        .size:           4
        .value_kind:     hidden_block_count_z
      - .offset:         12
        .size:           2
        .value_kind:     hidden_group_size_x
      - .offset:         14
        .size:           2
        .value_kind:     hidden_group_size_y
      - .offset:         16
        .size:           2
        .value_kind:     hidden_group_size_z
      - .offset:         18
        .size:           2
        .value_kind:     hidden_remainder_x
      - .offset:         20
        .size:           2
        .value_kind:     hidden_remainder_y
      - .offset:         22
        .size:           2
        .value_kind:     hidden_remainder_z
      - .offset:         40
        .size:           8
        .value_kind:     hidden_global_offset_x
      - .offset:         48
        .size:           8
        .value_kind:     hidden_global_offset_y
      - .offset:         56
        .size:           8
        .value_kind:     hidden_global_offset_z
      - .offset:         64
        .size:           2
        .value_kind:     hidden_grid_dims
    .group_segment_fixed_size: 0
    .kernarg_segment_align: 8
    .kernarg_segment_size: 256
    .language:       OpenCL C
    .language_version:
      - 2
      - 0
    .max_flat_workgroup_size: 1024
    .name:           _Z26sum_detector_scores_kernelv
    .private_segment_fixed_size: 0
    .sgpr_count:     22
    .sgpr_spill_count: 0
    .symbol:         _Z26sum_detector_scores_kernelv.kd
    .uniform_work_group_size: 1
    .uses_dynamic_stack: false
    .vgpr_count:     21
    .vgpr_spill_count: 0
    .wavefront_size: 32
amdhsa.target:   amdgcn-amd-amdhsa--gfx1250
amdhsa.version:
  - 1
  - 2
...

	.end_amdgpu_metadata
